;; amdgpu-corpus repo=ROCm/rocFFT kind=compiled arch=gfx1030 opt=O3
	.text
	.amdgcn_target "amdgcn-amd-amdhsa--gfx1030"
	.amdhsa_code_object_version 6
	.protected	bluestein_single_back_len1496_dim1_sp_op_CI_CI ; -- Begin function bluestein_single_back_len1496_dim1_sp_op_CI_CI
	.globl	bluestein_single_back_len1496_dim1_sp_op_CI_CI
	.p2align	8
	.type	bluestein_single_back_len1496_dim1_sp_op_CI_CI,@function
bluestein_single_back_len1496_dim1_sp_op_CI_CI: ; @bluestein_single_back_len1496_dim1_sp_op_CI_CI
; %bb.0:
	s_load_dwordx4 s[0:3], s[4:5], 0x28
	v_mul_u32_u24_e32 v1, 0x15f, v0
	v_mov_b32_e32 v69, 0
	v_lshrrev_b32_e32 v1, 16, v1
	v_add_nc_u32_e32 v68, s6, v1
	s_waitcnt lgkmcnt(0)
	v_cmp_gt_u64_e32 vcc_lo, s[0:1], v[68:69]
	s_and_saveexec_b32 s0, vcc_lo
	s_cbranch_execz .LBB0_23
; %bb.1:
	v_mul_lo_u16 v1, 0xbb, v1
	s_clause 0x1
	s_load_dwordx2 s[8:9], s[4:5], 0x0
	s_load_dwordx2 s[10:11], s[4:5], 0x38
	v_sub_nc_u16 v0, v0, v1
	v_and_b32_e32 v87, 0xffff, v0
	v_cmp_gt_u16_e32 vcc_lo, 0x58, v0
	v_lshlrev_b32_e32 v86, 3, v87
	v_or_b32_e32 v85, 0x580, v87
	s_and_saveexec_b32 s1, vcc_lo
	s_cbranch_execz .LBB0_3
; %bb.2:
	s_load_dwordx2 s[6:7], s[4:5], 0x18
	s_waitcnt lgkmcnt(0)
	v_add_co_u32 v12, s0, s8, v86
	v_add_co_ci_u32_e64 v13, null, s9, 0, s0
	v_lshlrev_b32_e32 v16, 3, v85
	v_add_co_u32 v4, s0, 0x800, v12
	v_add_co_ci_u32_e64 v5, s0, 0, v13, s0
	v_add_co_u32 v6, s0, 0x1000, v12
	v_add_co_ci_u32_e64 v7, s0, 0, v13, s0
	s_clause 0x1
	global_load_dwordx2 v[0:1], v86, s[8:9] offset:704
	global_load_dwordx2 v[2:3], v86, s[8:9] offset:1408
	v_add_co_u32 v8, s0, 0x1800, v12
	v_add_co_ci_u32_e64 v9, s0, 0, v13, s0
	v_add_co_u32 v10, s0, 0x2000, v12
	s_load_dwordx4 s[12:15], s[6:7], 0x0
	s_clause 0x7
	global_load_dwordx2 v[14:15], v86, s[8:9]
	global_load_dwordx2 v[16:17], v16, s[8:9]
	global_load_dwordx2 v[22:23], v[4:5], off offset:64
	global_load_dwordx2 v[24:25], v[4:5], off offset:768
	global_load_dwordx2 v[4:5], v[4:5], off offset:1472
	global_load_dwordx2 v[26:27], v[6:7], off offset:128
	global_load_dwordx2 v[28:29], v[6:7], off offset:832
	global_load_dwordx2 v[6:7], v[6:7], off offset:1536
	v_add_co_ci_u32_e64 v11, s0, 0, v13, s0
	v_add_co_u32 v12, s0, 0x2800, v12
	v_add_co_ci_u32_e64 v13, s0, 0, v13, s0
	v_add_nc_u32_e32 v71, 0x400, v86
	v_add_nc_u32_e32 v72, 0x800, v86
	;; [unrolled: 1-line block ×7, first 2 shown]
	s_waitcnt lgkmcnt(0)
	v_mad_u64_u32 v[18:19], null, s14, v68, 0
	v_mad_u64_u32 v[20:21], null, s12, v87, 0
	;; [unrolled: 1-line block ×3, first 2 shown]
	s_mul_i32 s0, s13, 0x2c0
	s_mul_hi_u32 s6, s12, 0x2c0
	s_mul_i32 s7, s12, 0x2c0
	s_add_i32 s6, s6, s0
	v_mad_u64_u32 v[32:33], null, s15, v68, v[19:20]
	v_mov_b32_e32 v19, v32
	v_mad_u64_u32 v[31:32], null, s13, v85, v[31:32]
	v_lshlrev_b64 v[18:19], 3, v[18:19]
	v_add_co_u32 v32, s0, s2, v18
	s_waitcnt vmcnt(5)
	v_mad_u64_u32 v[33:34], null, s13, v87, v[21:22]
	s_clause 0x4
	global_load_dwordx2 v[34:35], v[8:9], off offset:192
	global_load_dwordx2 v[36:37], v[8:9], off offset:896
	;; [unrolled: 1-line block ×5, first 2 shown]
	v_mov_b32_e32 v21, v33
	v_add_co_ci_u32_e64 v33, s0, s3, v19, s0
	v_lshlrev_b64 v[20:21], 3, v[20:21]
	v_add_co_u32 v18, s0, v32, v20
	v_add_co_ci_u32_e64 v19, s0, v33, v21, s0
	v_lshlrev_b64 v[20:21], 3, v[30:31]
	v_add_co_u32 v30, s0, v18, s7
	v_add_co_ci_u32_e64 v31, s0, s6, v19, s0
	global_load_dwordx2 v[18:19], v[18:19], off
	v_add_co_u32 v20, s0, v32, v20
	v_add_co_ci_u32_e64 v21, s0, v33, v21, s0
	v_add_co_u32 v32, s0, v30, s7
	v_add_co_ci_u32_e64 v33, s0, s6, v31, s0
	global_load_dwordx2 v[20:21], v[20:21], off
	v_add_co_u32 v42, s0, v32, s7
	v_add_co_ci_u32_e64 v43, s0, s6, v33, s0
	v_add_co_u32 v44, s0, v42, s7
	v_add_co_ci_u32_e64 v45, s0, s6, v43, s0
	s_clause 0x2
	global_load_dwordx2 v[30:31], v[30:31], off
	global_load_dwordx2 v[32:33], v[32:33], off
	;; [unrolled: 1-line block ×3, first 2 shown]
	v_add_co_u32 v46, s0, v44, s7
	v_add_co_ci_u32_e64 v47, s0, s6, v45, s0
	global_load_dwordx2 v[44:45], v[44:45], off
	v_add_co_u32 v48, s0, v46, s7
	v_add_co_ci_u32_e64 v49, s0, s6, v47, s0
	global_load_dwordx2 v[46:47], v[46:47], off
	v_add_co_u32 v50, s0, v48, s7
	v_add_co_ci_u32_e64 v51, s0, s6, v49, s0
	global_load_dwordx2 v[48:49], v[48:49], off
	v_add_co_u32 v52, s0, v50, s7
	v_add_co_ci_u32_e64 v53, s0, s6, v51, s0
	global_load_dwordx2 v[50:51], v[50:51], off
	v_add_co_u32 v54, s0, v52, s7
	v_add_co_ci_u32_e64 v55, s0, s6, v53, s0
	global_load_dwordx2 v[52:53], v[52:53], off
	v_add_co_u32 v56, s0, v54, s7
	v_add_co_ci_u32_e64 v57, s0, s6, v55, s0
	global_load_dwordx2 v[54:55], v[54:55], off
	v_add_co_u32 v58, s0, v56, s7
	v_add_co_ci_u32_e64 v59, s0, s6, v57, s0
	global_load_dwordx2 v[56:57], v[56:57], off
	v_add_co_u32 v60, s0, v58, s7
	v_add_co_ci_u32_e64 v61, s0, s6, v59, s0
	global_load_dwordx2 v[58:59], v[58:59], off
	v_add_co_u32 v62, s0, v60, s7
	v_add_co_ci_u32_e64 v63, s0, s6, v61, s0
	global_load_dwordx2 v[60:61], v[60:61], off
	v_add_co_u32 v64, s0, v62, s7
	v_add_co_ci_u32_e64 v65, s0, s6, v63, s0
	global_load_dwordx2 v[62:63], v[62:63], off
	v_add_co_u32 v66, s0, v64, s7
	v_add_co_ci_u32_e64 v67, s0, s6, v65, s0
	global_load_dwordx2 v[10:11], v[10:11], off offset:1664
	global_load_dwordx2 v[64:65], v[64:65], off
	global_load_dwordx2 v[12:13], v[12:13], off offset:320
	global_load_dwordx2 v[66:67], v[66:67], off
	s_waitcnt vmcnt(18)
	v_mul_f32_e32 v70, v18, v15
	v_mul_f32_e32 v69, v19, v15
	v_fma_f32 v70, v19, v14, -v70
	v_fmac_f32_e32 v69, v18, v14
	s_waitcnt vmcnt(17)
	v_mul_f32_e32 v15, v20, v17
	v_mul_f32_e32 v17, v21, v17
	v_fma_f32 v18, v21, v16, -v15
	v_fmac_f32_e32 v17, v20, v16
	s_waitcnt vmcnt(16)
	v_mul_f32_e32 v78, v30, v1
	v_mul_f32_e32 v14, v31, v1
	s_waitcnt vmcnt(15)
	v_mul_f32_e32 v1, v32, v3
	v_mul_f32_e32 v19, v33, v3
	s_waitcnt vmcnt(14)
	v_mul_f32_e32 v3, v42, v23
	v_fma_f32 v15, v31, v0, -v78
	v_fmac_f32_e32 v14, v30, v0
	v_mul_f32_e32 v0, v43, v23
	v_fma_f32 v20, v33, v2, -v1
	v_fmac_f32_e32 v19, v32, v2
	v_fma_f32 v1, v43, v22, -v3
	s_waitcnt vmcnt(13)
	v_mul_f32_e32 v3, v44, v25
	s_waitcnt vmcnt(12)
	v_mul_f32_e32 v16, v46, v5
	v_mul_f32_e32 v21, v47, v5
	;; [unrolled: 1-line block ×3, first 2 shown]
	v_fmac_f32_e32 v0, v42, v22
	v_fma_f32 v3, v45, v24, -v3
	v_fma_f32 v22, v47, v4, -v16
	v_fmac_f32_e32 v21, v46, v4
	v_fmac_f32_e32 v2, v44, v24
	ds_write2_b64 v86, v[69:70], v[14:15] offset1:88
	ds_write2_b64 v71, v[19:20], v[0:1] offset0:48 offset1:136
	s_waitcnt vmcnt(11)
	v_mul_f32_e32 v0, v49, v27
	v_mul_f32_e32 v1, v48, v27
	ds_write2_b64 v72, v[2:3], v[21:22] offset0:96 offset1:184
	s_waitcnt vmcnt(10)
	v_mul_f32_e32 v2, v51, v29
	v_mul_f32_e32 v3, v50, v29
	s_waitcnt vmcnt(9)
	v_mul_f32_e32 v4, v53, v7
	v_mul_f32_e32 v5, v52, v7
	v_fmac_f32_e32 v0, v48, v26
	v_fma_f32 v1, v49, v26, -v1
	v_fmac_f32_e32 v2, v50, v28
	s_waitcnt vmcnt(8)
	v_mul_f32_e32 v7, v54, v35
	v_fmac_f32_e32 v4, v52, v6
	v_fma_f32 v5, v53, v6, -v5
	v_mul_f32_e32 v14, v55, v35
	v_fma_f32 v3, v51, v28, -v3
	v_fma_f32 v15, v55, v34, -v7
	s_waitcnt vmcnt(7)
	v_mul_f32_e32 v16, v56, v37
	v_mul_f32_e32 v19, v57, v37
	v_fmac_f32_e32 v14, v54, v34
	s_waitcnt vmcnt(6)
	v_mul_f32_e32 v6, v59, v9
	v_mul_f32_e32 v7, v58, v9
	v_fma_f32 v20, v57, v36, -v16
	v_fmac_f32_e32 v19, v56, v36
	s_waitcnt vmcnt(5)
	v_mul_f32_e32 v9, v60, v39
	v_mul_f32_e32 v21, v61, v39
	v_fmac_f32_e32 v6, v58, v8
	v_fma_f32 v7, v59, v8, -v7
	s_waitcnt vmcnt(4)
	v_mul_f32_e32 v23, v63, v41
	v_fma_f32 v22, v61, v38, -v9
	v_mul_f32_e32 v9, v62, v41
	s_waitcnt vmcnt(2)
	v_mul_f32_e32 v8, v65, v11
	v_mul_f32_e32 v16, v64, v11
	s_waitcnt vmcnt(0)
	v_mul_f32_e32 v11, v67, v13
	v_mul_f32_e32 v13, v66, v13
	v_fmac_f32_e32 v21, v60, v38
	v_fmac_f32_e32 v23, v62, v40
	v_fma_f32 v24, v63, v40, -v9
	v_fmac_f32_e32 v8, v64, v10
	v_fma_f32 v9, v65, v10, -v16
	;; [unrolled: 2-line block ×3, first 2 shown]
	ds_write2_b64 v73, v[0:1], v[2:3] offset0:16 offset1:104
	ds_write2_b64 v74, v[4:5], v[14:15] offset0:64 offset1:152
	;; [unrolled: 1-line block ×5, first 2 shown]
	ds_write_b64 v86, v[17:18] offset:11264
.LBB0_3:
	s_or_b32 exec_lo, exec_lo, s1
	s_load_dwordx2 s[0:1], s[4:5], 0x20
	v_mov_b32_e32 v12, 0
	v_mov_b32_e32 v13, 0
	s_waitcnt lgkmcnt(0)
	s_barrier
	buffer_gl0_inv
                                        ; implicit-def: $vgpr30
                                        ; implicit-def: $vgpr24
                                        ; implicit-def: $vgpr20
                                        ; implicit-def: $vgpr16
                                        ; implicit-def: $vgpr8
                                        ; implicit-def: $vgpr42
                                        ; implicit-def: $vgpr34
                                        ; implicit-def: $vgpr38
	s_and_saveexec_b32 s2, vcc_lo
	s_cbranch_execz .LBB0_5
; %bb.4:
	v_add_nc_u32_e32 v0, 0x400, v86
	v_add_nc_u32_e32 v1, 0x800, v86
	;; [unrolled: 1-line block ×3, first 2 shown]
	ds_read2_b64 v[12:15], v86 offset1:88
	v_add_nc_u32_e32 v3, 0x2000, v86
	ds_read2_b64 v[36:39], v0 offset0:48 offset1:136
	ds_read2_b64 v[32:35], v1 offset0:96 offset1:184
	v_add_nc_u32_e32 v0, 0x1400, v86
	v_add_nc_u32_e32 v1, 0x1800, v86
	;; [unrolled: 1-line block ×3, first 2 shown]
	ds_read2_b64 v[40:43], v2 offset0:16 offset1:104
	ds_read2_b64 v[28:31], v0 offset0:64 offset1:152
	;; [unrolled: 1-line block ×5, first 2 shown]
	ds_read_b64 v[8:9], v86 offset:11264
.LBB0_5:
	s_or_b32 exec_lo, exec_lo, s2
	s_waitcnt lgkmcnt(0)
	v_sub_f32_e32 v11, v15, v9
	v_add_f32_e32 v66, v8, v14
	v_sub_f32_e32 v44, v14, v8
	v_sub_f32_e32 v46, v37, v19
	v_add_f32_e32 v67, v9, v15
	v_mul_f32_e32 v49, 0xbeb8f4ab, v11
	v_add_f32_e32 v72, v18, v36
	v_sub_f32_e32 v45, v36, v18
	v_mul_f32_e32 v51, 0xbeb8f4ab, v44
	v_mul_f32_e32 v48, 0xbf2c7751, v46
	v_fmamk_f32 v0, v66, 0x3f6eb680, v49
	v_sub_f32_e32 v65, v39, v17
	v_add_f32_e32 v74, v19, v37
	v_mul_f32_e32 v50, 0xbf2c7751, v45
	v_fma_f32 v1, 0x3f6eb680, v67, -v51
	v_fmamk_f32 v2, v72, 0x3f3d2fb0, v48
	v_add_f32_e32 v0, v0, v12
	v_sub_f32_e32 v47, v38, v16
	v_add_f32_e32 v93, v16, v38
	v_mul_f32_e32 v52, 0xbf65296c, v65
	v_sub_f32_e32 v88, v33, v23
	v_fma_f32 v3, 0x3f3d2fb0, v74, -v50
	v_add_f32_e32 v1, v1, v13
	v_add_f32_e32 v0, v2, v0
	;; [unrolled: 1-line block ×3, first 2 shown]
	v_mul_f32_e32 v53, 0xbf65296c, v47
	v_fmamk_f32 v2, v93, 0x3ee437d1, v52
	v_sub_f32_e32 v127, v32, v22
	v_add_f32_e32 v95, v22, v32
	v_mul_f32_e32 v54, 0xbf7ee86f, v88
	v_sub_f32_e32 v138, v35, v21
	v_add_f32_e32 v1, v3, v1
	v_fma_f32 v3, 0x3ee437d1, v94, -v53
	v_add_f32_e32 v96, v23, v33
	v_mul_f32_e32 v55, 0xbf7ee86f, v127
	v_add_f32_e32 v0, v2, v0
	v_fmamk_f32 v2, v95, 0x3dbcf732, v54
	v_add_f32_e32 v105, v20, v34
	v_mul_f32_e32 v56, 0xbf763a35, v138
	v_sub_f32_e32 v139, v34, v20
	v_sub_f32_e32 v140, v41, v27
	v_add_f32_e32 v1, v3, v1
	v_fma_f32 v3, 0x3dbcf732, v96, -v55
	v_add_f32_e32 v0, v2, v0
	v_fmamk_f32 v2, v105, 0xbe8c1d8e, v56
	v_add_f32_e32 v115, v21, v35
	v_mul_f32_e32 v58, 0xbf763a35, v139
	v_add_f32_e32 v106, v26, v40
	v_mul_f32_e32 v57, 0xbf4c4adb, v140
	v_sub_f32_e32 v141, v40, v26
	v_sub_f32_e32 v144, v43, v25
	v_add_f32_e32 v1, v3, v1
	v_add_f32_e32 v0, v2, v0
	v_fma_f32 v2, 0xbe8c1d8e, v115, -v58
	v_fmamk_f32 v3, v106, 0xbf1a4643, v57
	v_add_f32_e32 v117, v27, v41
	v_mul_f32_e32 v60, 0xbf4c4adb, v141
	v_add_f32_e32 v107, v24, v42
	v_mul_f32_e32 v59, 0xbf06c442, v144
	v_sub_f32_e32 v148, v42, v24
	v_add_f32_e32 v1, v2, v1
	v_fma_f32 v2, 0xbf1a4643, v117, -v60
	v_add_f32_e32 v0, v3, v0
	v_fmamk_f32 v3, v107, 0xbf59a7d5, v59
	v_add_f32_e32 v108, v25, v43
	v_mul_f32_e32 v61, 0xbf06c442, v148
	v_sub_f32_e32 v155, v29, v31
	v_mul_f32_e32 v77, 0xbf2c7751, v11
	v_add_f32_e32 v1, v2, v1
	v_add_f32_e32 v0, v3, v0
	v_fma_f32 v2, 0xbf59a7d5, v108, -v61
	v_add_f32_e32 v119, v30, v28
	v_mul_f32_e32 v62, 0xbe3c28d5, v155
	v_fmamk_f32 v3, v66, 0x3f3d2fb0, v77
	v_mul_f32_e32 v78, 0xbf7ee86f, v46
	v_mul_f32_e32 v89, 0xbf2c7751, v44
	v_add_f32_e32 v1, v2, v1
	v_fmamk_f32 v2, v119, 0xbf7ba420, v62
	v_add_f32_e32 v3, v3, v12
	v_fmamk_f32 v4, v72, 0x3dbcf732, v78
	v_fma_f32 v5, 0x3f3d2fb0, v67, -v89
	v_mul_f32_e32 v91, 0xbf7ee86f, v45
	v_mul_f32_e32 v79, 0xbf4c4adb, v65
	v_add_f32_e32 v69, v2, v0
	v_add_f32_e32 v0, v4, v3
	;; [unrolled: 1-line block ×3, first 2 shown]
	v_fma_f32 v3, 0x3dbcf732, v74, -v91
	v_fmamk_f32 v4, v93, 0xbf1a4643, v79
	v_mul_f32_e32 v83, 0xbf4c4adb, v47
	v_mul_f32_e32 v81, 0xbe3c28d5, v88
	;; [unrolled: 1-line block ×3, first 2 shown]
	v_add_f32_e32 v2, v3, v2
	v_add_f32_e32 v0, v4, v0
	v_fma_f32 v3, 0xbf1a4643, v94, -v83
	v_fmamk_f32 v4, v95, 0xbf7ba420, v81
	v_mul_f32_e32 v82, 0x3f06c442, v138
	v_mul_f32_e32 v90, 0x3f06c442, v139
	;; [unrolled: 1-line block ×3, first 2 shown]
	v_add_f32_e32 v2, v3, v2
	v_add_f32_e32 v0, v4, v0
	v_fma_f32 v3, 0xbf7ba420, v96, -v84
	v_fmamk_f32 v4, v105, 0xbf59a7d5, v82
	v_sub_f32_e32 v160, v28, v30
	v_mul_f32_e32 v92, 0x3f763a35, v141
	v_mul_f32_e32 v101, 0xbf65296c, v11
	v_add_f32_e32 v2, v3, v2
	v_fma_f32 v3, 0xbf59a7d5, v115, -v90
	v_add_f32_e32 v0, v4, v0
	v_fmamk_f32 v4, v106, 0xbe8c1d8e, v71
	v_add_f32_e32 v120, v31, v29
	v_mul_f32_e32 v63, 0xbe3c28d5, v160
	v_add_f32_e32 v2, v3, v2
	v_fma_f32 v3, 0xbe8c1d8e, v117, -v92
	v_add_f32_e32 v0, v4, v0
	v_mul_f32_e32 v73, 0x3f65296c, v144
	v_mul_f32_e32 v76, 0x3f65296c, v148
	v_fmamk_f32 v4, v66, 0x3ee437d1, v101
	v_mul_f32_e32 v102, 0xbf4c4adb, v46
	v_fma_f32 v5, 0xbf7ba420, v120, -v63
	v_add_f32_e32 v2, v3, v2
	v_fmamk_f32 v3, v107, 0x3ee437d1, v73
	v_fma_f32 v6, 0x3ee437d1, v108, -v76
	v_add_f32_e32 v4, v4, v12
	v_fmamk_f32 v7, v72, 0xbf1a4643, v102
	v_mul_f32_e32 v103, 0x3e3c28d5, v65
	v_mul_f32_e32 v110, 0xbf65296c, v44
	v_add_f32_e32 v70, v5, v1
	v_add_f32_e32 v0, v3, v0
	;; [unrolled: 1-line block ×4, first 2 shown]
	v_fmamk_f32 v3, v93, 0xbf7ba420, v103
	v_mul_f32_e32 v97, 0x3f763a35, v88
	v_fma_f32 v5, 0x3ee437d1, v67, -v110
	v_mul_f32_e32 v111, 0xbf4c4adb, v45
	v_mul_f32_e32 v98, 0x3f2c7751, v138
	v_add_f32_e32 v2, v3, v2
	v_fmamk_f32 v3, v95, 0xbe8c1d8e, v97
	v_add_f32_e32 v5, v5, v13
	v_fma_f32 v6, 0xbf1a4643, v74, -v111
	v_mul_f32_e32 v112, 0x3e3c28d5, v47
	v_mul_f32_e32 v75, 0x3eb8f4ab, v155
	v_add_f32_e32 v2, v3, v2
	v_fmamk_f32 v3, v105, 0x3f3d2fb0, v98
	v_mul_f32_e32 v99, 0xbeb8f4ab, v140
	v_add_f32_e32 v5, v6, v5
	v_fma_f32 v6, 0xbf7ba420, v94, -v112
	v_mul_f32_e32 v113, 0x3f763a35, v127
	v_mul_f32_e32 v80, 0x3eb8f4ab, v160
	v_fmamk_f32 v4, v119, 0x3f6eb680, v75
	v_add_f32_e32 v2, v3, v2
	v_fmamk_f32 v3, v106, 0x3f6eb680, v99
	v_mul_f32_e32 v100, 0xbf7ee86f, v144
	v_add_f32_e32 v5, v6, v5
	v_fma_f32 v6, 0xbe8c1d8e, v96, -v113
	v_mul_f32_e32 v114, 0x3f2c7751, v139
	v_fma_f32 v7, 0x3f6eb680, v120, -v80
	v_add_f32_e32 v3, v3, v2
	v_fmamk_f32 v10, v107, 0x3dbcf732, v100
	v_add_f32_e32 v2, v4, v0
	v_mul_f32_e32 v104, 0xbf06c442, v155
	v_add_f32_e32 v4, v6, v5
	v_fma_f32 v5, 0x3f3d2fb0, v115, -v114
	v_mul_f32_e32 v109, 0xbeb8f4ab, v141
	v_mul_f32_e32 v123, 0xbf7ee86f, v11
	v_add_f32_e32 v0, v10, v3
	v_fmamk_f32 v6, v119, 0xbf59a7d5, v104
	v_add_f32_e32 v3, v7, v1
	v_add_f32_e32 v1, v5, v4
	v_fma_f32 v4, 0x3f6eb680, v117, -v109
	v_fmamk_f32 v5, v66, 0x3dbcf732, v123
	v_mul_f32_e32 v124, 0xbe3c28d5, v46
	v_mul_f32_e32 v133, 0xbf7ee86f, v44
	v_add_f32_e32 v0, v6, v0
	v_add_f32_e32 v1, v4, v1
	v_mul_f32_e32 v116, 0xbf7ee86f, v148
	v_add_f32_e32 v4, v5, v12
	v_fmamk_f32 v5, v72, 0xbf7ba420, v124
	v_fma_f32 v6, 0x3dbcf732, v67, -v133
	v_mul_f32_e32 v134, 0xbe3c28d5, v45
	v_mul_f32_e32 v121, 0x3f763a35, v65
	v_fma_f32 v7, 0x3dbcf732, v108, -v116
	v_add_f32_e32 v4, v5, v4
	v_add_f32_e32 v5, v6, v13
	v_fma_f32 v6, 0xbf7ba420, v74, -v134
	v_fmamk_f32 v10, v93, 0xbe8c1d8e, v121
	v_mul_f32_e32 v135, 0x3f763a35, v47
	v_mul_f32_e32 v122, 0x3eb8f4ab, v88
	v_add_f32_e32 v1, v7, v1
	v_add_f32_e32 v5, v6, v5
	v_add_f32_e32 v4, v10, v4
	v_fma_f32 v6, 0xbe8c1d8e, v94, -v135
	v_fmamk_f32 v7, v95, 0x3f6eb680, v122
	v_mul_f32_e32 v132, 0x3eb8f4ab, v127
	v_mul_f32_e32 v125, 0xbf65296c, v138
	;; [unrolled: 1-line block ×3, first 2 shown]
	v_add_f32_e32 v5, v6, v5
	v_add_f32_e32 v4, v7, v4
	v_fma_f32 v6, 0x3f6eb680, v96, -v132
	v_fmamk_f32 v7, v105, 0x3ee437d1, v125
	v_mul_f32_e32 v126, 0xbf06c442, v140
	v_mul_f32_e32 v131, 0xbf06c442, v141
	;; [unrolled: 1-line block ×3, first 2 shown]
	v_add_f32_e32 v5, v6, v5
	v_fma_f32 v6, 0x3ee437d1, v115, -v129
	v_add_f32_e32 v4, v7, v4
	v_fmamk_f32 v7, v106, 0xbf59a7d5, v126
	v_mul_f32_e32 v128, 0x3f4c4adb, v144
	v_mul_f32_e32 v145, 0x3f06c442, v46
	v_add_f32_e32 v5, v6, v5
	v_fma_f32 v6, 0xbf59a7d5, v117, -v131
	v_add_f32_e32 v4, v7, v4
	v_fmamk_f32 v7, v66, 0xbe8c1d8e, v143
	v_fmamk_f32 v64, v72, 0xbf59a7d5, v145
	v_mul_f32_e32 v146, 0x3f2c7751, v65
	v_add_f32_e32 v5, v6, v5
	v_fmamk_f32 v6, v107, 0xbf1a4643, v128
	v_add_f32_e32 v7, v7, v12
	v_mul_f32_e32 v147, 0xbf65296c, v88
	v_mul_f32_e32 v118, 0xbf06c442, v160
	;; [unrolled: 1-line block ×3, first 2 shown]
	v_add_f32_e32 v4, v6, v4
	v_add_f32_e32 v6, v64, v7
	v_fmamk_f32 v7, v93, 0x3f3d2fb0, v146
	v_mul_f32_e32 v151, 0xbe3c28d5, v138
	v_fma_f32 v10, 0xbf59a7d5, v120, -v118
	v_mul_f32_e32 v136, 0x3f4c4adb, v148
	v_fma_f32 v142, 0xbe8c1d8e, v67, -v156
	v_add_f32_e32 v6, v7, v6
	v_fmamk_f32 v7, v95, 0x3ee437d1, v147
	v_mul_f32_e32 v157, 0x3f06c442, v45
	v_mul_f32_e32 v149, 0x3f7ee86f, v140
	v_add_f32_e32 v1, v10, v1
	v_fma_f32 v10, 0xbf1a4643, v108, -v136
	v_add_f32_e32 v6, v7, v6
	v_fmamk_f32 v7, v105, 0xbf7ba420, v151
	v_mul_f32_e32 v130, 0x3f2c7751, v155
	v_add_f32_e32 v142, v142, v13
	v_fma_f32 v153, 0xbf59a7d5, v74, -v157
	v_mul_f32_e32 v152, 0x3f2c7751, v47
	v_add_f32_e32 v6, v7, v6
	v_fmamk_f32 v7, v106, 0x3dbcf732, v149
	v_mul_f32_e32 v150, 0xbeb8f4ab, v144
	v_add_f32_e32 v5, v10, v5
	v_mul_f32_e32 v137, 0x3f2c7751, v160
	v_fmamk_f32 v10, v119, 0x3f3d2fb0, v130
	v_add_f32_e32 v154, v153, v142
	v_fma_f32 v158, 0x3f3d2fb0, v94, -v152
	v_mul_f32_e32 v153, 0xbf65296c, v127
	v_add_f32_e32 v7, v7, v6
	v_fmamk_f32 v159, v107, 0x3f6eb680, v150
	v_mul_f32_e32 v142, 0xbf4c4adb, v155
	v_fma_f32 v64, 0x3f3d2fb0, v120, -v137
	v_add_f32_e32 v158, v158, v154
	v_fma_f32 v161, 0x3ee437d1, v96, -v153
	v_mul_f32_e32 v154, 0xbe3c28d5, v139
	v_add_f32_e32 v6, v10, v4
	v_add_f32_e32 v4, v159, v7
	v_fmamk_f32 v10, v119, 0xbf1a4643, v142
	v_mul_f32_e32 v168, 0xbf4c4adb, v11
	v_mul_f32_e32 v170, 0xbf4c4adb, v44
	v_add_f32_e32 v158, v161, v158
	v_fma_f32 v159, 0xbf7ba420, v115, -v154
	v_add_f32_e32 v7, v64, v5
	v_add_f32_e32 v4, v10, v4
	v_fmamk_f32 v10, v66, 0xbf1a4643, v168
	v_mul_f32_e32 v169, 0x3f763a35, v46
	v_fma_f32 v64, 0xbf1a4643, v67, -v170
	v_mul_f32_e32 v171, 0x3f763a35, v45
	v_add_f32_e32 v5, v159, v158
	v_mul_f32_e32 v158, 0x3f7ee86f, v141
	v_add_f32_e32 v10, v10, v12
	v_fmamk_f32 v161, v72, 0xbe8c1d8e, v169
	v_add_f32_e32 v64, v64, v13
	v_fma_f32 v162, 0xbe8c1d8e, v74, -v171
	v_mul_f32_e32 v165, 0xbeb8f4ab, v65
	v_mul_f32_e32 v172, 0xbeb8f4ab, v47
	v_fma_f32 v159, 0x3dbcf732, v117, -v158
	v_add_f32_e32 v10, v161, v10
	v_add_f32_e32 v64, v162, v64
	v_fmamk_f32 v161, v93, 0x3f6eb680, v165
	v_fma_f32 v163, 0x3f6eb680, v94, -v172
	v_mul_f32_e32 v162, 0xbf06c442, v88
	v_mul_f32_e32 v173, 0xbf06c442, v127
	v_add_f32_e32 v5, v159, v5
	v_mul_f32_e32 v159, 0xbeb8f4ab, v148
	v_add_f32_e32 v10, v161, v10
	v_add_f32_e32 v64, v163, v64
	v_fmamk_f32 v161, v95, 0xbf59a7d5, v162
	v_fma_f32 v164, 0xbf59a7d5, v96, -v173
	v_mul_f32_e32 v163, 0x3f7ee86f, v138
	v_mul_f32_e32 v174, 0x3f7ee86f, v139
	v_fma_f32 v166, 0x3f6eb680, v108, -v159
	v_add_f32_e32 v10, v161, v10
	v_add_f32_e32 v64, v164, v64
	v_fmamk_f32 v161, v105, 0x3dbcf732, v163
	v_fma_f32 v167, 0x3dbcf732, v115, -v174
	v_mul_f32_e32 v164, 0xbf2c7751, v140
	v_mul_f32_e32 v179, 0xbf06c442, v11
	;; [unrolled: 1-line block ×3, first 2 shown]
	v_add_f32_e32 v5, v166, v5
	v_add_f32_e32 v10, v161, v10
	;; [unrolled: 1-line block ×3, first 2 shown]
	v_fmamk_f32 v166, v106, 0x3f3d2fb0, v164
	v_mul_f32_e32 v167, 0xbe3c28d5, v144
	v_fmamk_f32 v180, v66, 0xbf59a7d5, v179
	v_mul_f32_e32 v184, 0x3f65296c, v46
	v_mul_f32_e32 v188, 0xbf06c442, v44
	v_fma_f32 v177, 0x3f3d2fb0, v117, -v176
	v_mul_f32_e32 v175, 0xbe3c28d5, v148
	v_add_f32_e32 v10, v166, v10
	v_fmamk_f32 v178, v107, 0xbf7ba420, v167
	v_add_f32_e32 v180, v180, v12
	v_fmamk_f32 v183, v72, 0x3ee437d1, v184
	v_fma_f32 v186, 0xbf59a7d5, v67, -v188
	v_mul_f32_e32 v189, 0x3f65296c, v45
	v_mul_f32_e32 v185, 0xbf7ee86f, v65
	v_add_f32_e32 v64, v177, v64
	v_fma_f32 v181, 0xbf7ba420, v108, -v175
	v_add_f32_e32 v10, v178, v10
	v_add_f32_e32 v178, v183, v180
	;; [unrolled: 1-line block ×3, first 2 shown]
	v_fma_f32 v186, 0x3ee437d1, v74, -v189
	v_fmamk_f32 v187, v93, 0x3dbcf732, v185
	v_mul_f32_e32 v192, 0xbf7ee86f, v47
	v_mul_f32_e32 v180, 0x3f4c4adb, v88
	;; [unrolled: 1-line block ×3, first 2 shown]
	v_add_f32_e32 v64, v181, v64
	v_add_f32_e32 v181, v186, v183
	;; [unrolled: 1-line block ×3, first 2 shown]
	v_fma_f32 v186, 0x3dbcf732, v94, -v192
	v_fmamk_f32 v187, v95, 0xbf1a4643, v180
	v_mul_f32_e32 v183, 0xbeb8f4ab, v138
	v_fma_f32 v182, 0xbf1a4643, v120, -v161
	v_mul_f32_e32 v193, 0x3f4c4adb, v127
	v_add_f32_e32 v181, v186, v181
	v_add_f32_e32 v186, v187, v178
	v_fmamk_f32 v191, v105, 0x3f6eb680, v183
	v_mul_f32_e32 v178, 0xbe3c28d5, v140
	v_fma_f32 v187, 0xbf1a4643, v96, -v193
	v_mul_f32_e32 v190, 0xbeb8f4ab, v139
	v_add_f32_e32 v5, v182, v5
	v_add_f32_e32 v186, v191, v186
	v_fmamk_f32 v196, v106, 0xbf7ba420, v178
	v_mul_f32_e32 v182, 0x3f2c7751, v144
	v_mul_f32_e32 v177, 0x3f65296c, v160
	v_add_f32_e32 v181, v187, v181
	v_fma_f32 v187, 0x3f6eb680, v115, -v190
	v_mul_f32_e32 v191, 0xbe3c28d5, v141
	v_add_f32_e32 v196, v196, v186
	v_fmamk_f32 v198, v107, 0x3f3d2fb0, v182
	v_fma_f32 v195, 0x3ee437d1, v120, -v177
	v_add_f32_e32 v187, v187, v181
	v_fma_f32 v197, 0xbf7ba420, v117, -v191
	v_mul_f32_e32 v181, 0xbf763a35, v155
	v_add_f32_e32 v196, v198, v196
	v_mul_f32_e32 v198, 0xbe3c28d5, v11
	v_add_f32_e32 v11, v195, v64
	v_add_f32_e32 v187, v197, v187
	v_fmamk_f32 v197, v119, 0xbe8c1d8e, v181
	v_mul_f32_e32 v44, 0xbe3c28d5, v44
	v_fma_f32 v195, 0xbf7ba420, v66, -v198
	v_mul_f32_e32 v46, 0x3eb8f4ab, v46
	v_mul_f32_e32 v45, 0x3eb8f4ab, v45
	v_add_f32_e32 v64, v197, v196
	v_fmamk_f32 v196, v67, 0xbf7ba420, v44
	v_add_f32_e32 v195, v195, v12
	v_fma_f32 v197, 0x3f6eb680, v72, -v46
	v_mul_f32_e32 v65, 0xbf06c442, v65
	v_fmac_f32_e32 v198, 0xbf7ba420, v66
	v_fma_f32 v44, 0xbf7ba420, v67, -v44
	v_add_f32_e32 v196, v196, v13
	v_fmamk_f32 v199, v74, 0x3f6eb680, v45
	v_mul_f32_e32 v47, 0xbf06c442, v47
	v_add_f32_e32 v195, v197, v195
	v_fma_f32 v197, 0xbf59a7d5, v93, -v65
	v_mul_f32_e32 v88, 0x3f2c7751, v88
	v_add_f32_e32 v198, v198, v12
	v_fmac_f32_e32 v46, 0x3f6eb680, v72
	v_add_f32_e32 v44, v44, v13
	v_fma_f32 v45, 0x3f6eb680, v74, -v45
	v_add_f32_e32 v196, v199, v196
	v_fmamk_f32 v199, v94, 0xbf59a7d5, v47
	v_mul_f32_e32 v127, 0x3f2c7751, v127
	v_add_f32_e32 v195, v197, v195
	v_fma_f32 v197, 0x3f3d2fb0, v95, -v88
	v_mul_f32_e32 v138, 0xbf4c4adb, v138
	v_add_f32_e32 v46, v46, v198
	v_fmac_f32_e32 v65, 0xbf59a7d5, v93
	v_add_f32_e32 v44, v45, v44
	v_fma_f32 v45, 0xbf59a7d5, v94, -v47
	v_mul_f32_e32 v166, 0x3f65296c, v155
	v_add_f32_e32 v196, v199, v196
	v_fmamk_f32 v199, v96, 0x3f3d2fb0, v127
	v_mul_f32_e32 v139, 0xbf4c4adb, v139
	v_add_f32_e32 v195, v197, v195
	v_fma_f32 v197, 0xbf1a4643, v105, -v138
	v_mul_f32_e32 v140, 0x3f65296c, v140
	v_add_f32_e32 v46, v65, v46
	v_fmac_f32_e32 v88, 0x3f3d2fb0, v95
	v_add_f32_e32 v44, v45, v44
	v_fma_f32 v45, 0x3f3d2fb0, v96, -v127
	v_fmamk_f32 v194, v119, 0x3ee437d1, v166
	v_mul_f32_e32 v186, 0x3f2c7751, v148
	v_add_f32_e32 v196, v199, v196
	v_fmamk_f32 v199, v115, 0xbf1a4643, v139
	v_add_f32_e32 v195, v197, v195
	v_mul_f32_e32 v141, 0x3f65296c, v141
	v_fma_f32 v197, 0x3ee437d1, v106, -v140
	v_mul_f32_e32 v144, 0xbf763a35, v144
	v_add_f32_e32 v46, v88, v46
	v_fmac_f32_e32 v138, 0xbf1a4643, v105
	v_add_f32_e32 v44, v45, v44
	v_fma_f32 v45, 0xbf1a4643, v115, -v139
	v_add_f32_e32 v10, v194, v10
	v_fma_f32 v194, 0x3f3d2fb0, v108, -v186
	v_add_f32_e32 v196, v199, v196
	v_fmamk_f32 v199, v117, 0x3ee437d1, v141
	v_add_f32_e32 v195, v197, v195
	v_mul_f32_e32 v47, 0xbf763a35, v148
	v_fma_f32 v65, 0xbe8c1d8e, v107, -v144
	v_add_f32_e32 v46, v138, v46
	v_fmac_f32_e32 v140, 0x3ee437d1, v106
	v_add_f32_e32 v44, v45, v44
	v_fma_f32 v45, 0x3ee437d1, v117, -v141
	s_load_dwordx2 s[2:3], s[4:5], 0x8
	v_add_f32_e32 v194, v194, v187
	v_mul_f32_e32 v187, 0xbf763a35, v160
	v_add_f32_e32 v196, v199, v196
	v_fmamk_f32 v127, v108, 0xbe8c1d8e, v47
	v_add_f32_e32 v88, v65, v195
	v_mul_f32_e32 v138, 0x3f7ee86f, v155
	v_mul_f32_e32 v65, 0x3f7ee86f, v160
	v_add_f32_e32 v46, v140, v46
	v_fmac_f32_e32 v144, 0xbe8c1d8e, v107
	v_add_f32_e32 v44, v45, v44
	v_fma_f32 v45, 0xbe8c1d8e, v108, -v47
	v_fma_f32 v200, 0xbe8c1d8e, v120, -v187
	v_add_f32_e32 v127, v127, v196
	v_fma_f32 v47, 0x3dbcf732, v119, -v138
	v_fmamk_f32 v139, v120, 0x3dbcf732, v65
	v_add_f32_e32 v46, v144, v46
	v_fmac_f32_e32 v138, 0x3dbcf732, v119
	v_add_f32_e32 v140, v45, v44
	v_fma_f32 v141, 0x3dbcf732, v120, -v65
	v_add_f32_e32 v65, v200, v194
	v_add_f32_e32 v44, v47, v88
	;; [unrolled: 1-line block ×5, first 2 shown]
	v_mul_lo_u16 v88, v87, 17
	s_waitcnt lgkmcnt(0)
	s_barrier
	buffer_gl0_inv
	s_and_saveexec_b32 s4, vcc_lo
	s_cbranch_execz .LBB0_7
; %bb.6:
	v_mul_f32_e32 v138, 0x3f6eb680, v67
	v_mul_f32_e32 v140, 0x3f3d2fb0, v67
	;; [unrolled: 1-line block ×21, first 2 shown]
	v_add_f32_e32 v67, v188, v67
	v_mul_f32_e32 v197, 0x3f3d2fb0, v72
	v_mul_f32_e32 v199, 0x3dbcf732, v72
	v_mul_f32_e32 v201, 0xbf1a4643, v72
	v_mul_f32_e32 v203, 0xbf7ba420, v72
	v_mul_f32_e32 v205, 0xbf59a7d5, v72
	v_mul_f32_e32 v207, 0xbe8c1d8e, v72
	v_mul_f32_e32 v72, 0x3ee437d1, v72
	v_mul_f32_e32 v210, 0x3ee437d1, v94
	v_mul_f32_e32 v212, 0xbf1a4643, v94
	v_mul_f32_e32 v214, 0xbf7ba420, v94
	v_mul_f32_e32 v216, 0xbe8c1d8e, v94
	v_mul_f32_e32 v218, 0x3f3d2fb0, v94
	v_mul_f32_e32 v220, 0x3f6eb680, v94
	v_mul_f32_e32 v94, 0x3dbcf732, v94
	v_add_f32_e32 v67, v67, v13
	v_add_f32_e32 v74, v189, v74
	v_sub_f32_e32 v66, v66, v179
	v_mul_f32_e32 v209, 0x3ee437d1, v93
	v_mul_f32_e32 v211, 0xbf1a4643, v93
	;; [unrolled: 1-line block ×14, first 2 shown]
	v_add_f32_e32 v67, v74, v67
	v_add_f32_e32 v74, v192, v94
	v_sub_f32_e32 v72, v72, v184
	v_add_f32_e32 v66, v66, v12
	v_mul_f32_e32 v234, 0xbe8c1d8e, v115
	v_mul_f32_e32 v236, 0xbf59a7d5, v115
	;; [unrolled: 1-line block ×7, first 2 shown]
	v_add_f32_e32 v67, v74, v67
	v_add_f32_e32 v74, v193, v96
	;; [unrolled: 1-line block ×3, first 2 shown]
	v_sub_f32_e32 v72, v93, v185
	v_mul_f32_e32 v221, 0x3dbcf732, v95
	v_mul_f32_e32 v223, 0xbf7ba420, v95
	;; [unrolled: 1-line block ×8, first 2 shown]
	v_add_f32_e32 v67, v74, v67
	v_add_f32_e32 v74, v190, v115
	;; [unrolled: 1-line block ×4, first 2 shown]
	v_mul_f32_e32 v233, 0xbe8c1d8e, v105
	v_mul_f32_e32 v235, 0xbf59a7d5, v105
	;; [unrolled: 1-line block ×7, first 2 shown]
	v_add_f32_e32 v67, v74, v67
	v_add_f32_e32 v96, v191, v96
	v_sub_f32_e32 v95, v95, v180
	v_add_f32_e32 v171, v171, v208
	v_add_f32_e32 v72, v72, v13
	v_mul_f32_e32 v193, 0xbf59a7d5, v108
	v_mul_f32_e32 v254, 0x3ee437d1, v108
	;; [unrolled: 1-line block ×5, first 2 shown]
	v_add_f32_e32 v67, v96, v67
	v_mul_f32_e32 v96, 0xbf7ba420, v108
	v_mul_f32_e32 v108, 0x3f3d2fb0, v108
	v_add_f32_e32 v66, v95, v66
	v_sub_f32_e32 v105, v105, v183
	v_add_f32_e32 v72, v171, v72
	v_add_f32_e32 v172, v172, v220
	v_mul_f32_e32 v245, 0xbf1a4643, v106
	v_mul_f32_e32 v246, 0xbe8c1d8e, v106
	;; [unrolled: 1-line block ×11, first 2 shown]
	v_add_f32_e32 v108, v186, v108
	v_add_f32_e32 v66, v105, v66
	v_mul_f32_e32 v105, 0xbf1a4643, v120
	v_add_f32_e32 v72, v172, v72
	v_add_f32_e32 v173, v173, v232
	v_mul_f32_e32 v220, 0x3ee437d1, v120
	v_mul_f32_e32 v120, 0xbe8c1d8e, v120
	;; [unrolled: 1-line block ×15, first 2 shown]
	v_sub_f32_e32 v106, v106, v178
	v_add_f32_e32 v72, v173, v72
	v_add_f32_e32 v173, v174, v244
	;; [unrolled: 1-line block ×4, first 2 shown]
	v_mul_f32_e32 v185, 0xbf7ba420, v119
	v_mul_f32_e32 v180, 0x3f6eb680, v119
	;; [unrolled: 1-line block ×7, first 2 shown]
	v_add_f32_e32 v66, v106, v66
	v_sub_f32_e32 v106, v107, v182
	v_add_f32_e32 v72, v173, v72
	v_add_f32_e32 v107, v176, v252
	;; [unrolled: 1-line block ×3, first 2 shown]
	v_sub_f32_e32 v108, v195, v168
	v_add_f32_e32 v66, v106, v66
	v_sub_f32_e32 v106, v119, v181
	v_add_f32_e32 v72, v107, v72
	v_add_f32_e32 v96, v175, v96
	v_add_f32_e32 v107, v108, v12
	v_sub_f32_e32 v108, v207, v169
	v_add_f32_e32 v66, v106, v66
	v_add_f32_e32 v106, v156, v194
	;; [unrolled: 1-line block ×5, first 2 shown]
	v_sub_f32_e32 v108, v219, v165
	v_sub_f32_e32 v77, v139, v77
	v_add_f32_e32 v15, v15, v13
	v_add_f32_e32 v14, v14, v12
	v_add_f32_e32 v106, v106, v13
	v_add_f32_e32 v119, v157, v206
	v_add_f32_e32 v72, v96, v72
	v_sub_f32_e32 v96, v160, v143
	v_add_f32_e32 v107, v108, v107
	v_sub_f32_e32 v108, v231, v162
	v_add_f32_e32 v77, v77, v12
	v_sub_f32_e32 v78, v199, v78
	v_add_f32_e32 v15, v37, v15
	v_add_f32_e32 v14, v36, v14
	v_add_f32_e32 v106, v119, v106
	v_add_f32_e32 v119, v152, v218
	v_add_f32_e32 v96, v96, v12
	v_sub_f32_e32 v120, v205, v145
	v_add_f32_e32 v107, v108, v107
	v_sub_f32_e32 v108, v243, v163
	v_add_f32_e32 v77, v78, v77
	;; [unrolled: 10-line block ×4, first 2 shown]
	v_sub_f32_e32 v78, v235, v82
	v_add_f32_e32 v15, v35, v15
	v_add_f32_e32 v32, v34, v32
	;; [unrolled: 1-line block ×5, first 2 shown]
	v_sub_f32_e32 v108, v241, v151
	v_add_f32_e32 v107, v93, v107
	v_add_f32_e32 v93, v133, v155
	;; [unrolled: 1-line block ×3, first 2 shown]
	v_sub_f32_e32 v36, v246, v71
	v_add_f32_e32 v15, v41, v15
	v_add_f32_e32 v32, v40, v32
	;; [unrolled: 1-line block ×5, first 2 shown]
	v_sub_f32_e32 v108, v251, v149
	v_add_f32_e32 v93, v93, v13
	v_add_f32_e32 v119, v134, v204
	v_sub_f32_e32 v101, v141, v101
	v_add_f32_e32 v36, v36, v77
	v_sub_f32_e32 v38, v253, v73
	v_add_f32_e32 v15, v43, v15
	v_add_f32_e32 v32, v42, v32
	;; [unrolled: 1-line block ×5, first 2 shown]
	v_sub_f32_e32 v106, v190, v150
	v_add_f32_e32 v93, v119, v93
	v_add_f32_e32 v108, v135, v216
	v_sub_f32_e32 v120, v148, v123
	v_add_f32_e32 v101, v101, v12
	v_sub_f32_e32 v102, v201, v102
	v_add_f32_e32 v110, v110, v144
	v_add_f32_e32 v89, v89, v140
	;; [unrolled: 1-line block ×4, first 2 shown]
	v_sub_f32_e32 v35, v127, v49
	v_add_f32_e32 v15, v29, v15
	v_add_f32_e32 v28, v28, v32
	;; [unrolled: 1-line block ×7, first 2 shown]
	v_sub_f32_e32 v108, v203, v124
	v_add_f32_e32 v101, v102, v101
	v_sub_f32_e32 v102, v213, v103
	v_add_f32_e32 v110, v110, v13
	v_add_f32_e32 v89, v89, v13
	v_add_f32_e32 v13, v36, v13
	v_add_f32_e32 v36, v50, v198
	v_add_f32_e32 v12, v35, v12
	v_sub_f32_e32 v35, v197, v48
	v_add_f32_e32 v15, v31, v15
	v_add_f32_e32 v28, v30, v28
	v_add_f32_e32 v93, v105, v93
	v_add_f32_e32 v105, v129, v240
	;; [unrolled: 6-line block ×3, first 2 shown]
	v_add_f32_e32 v36, v53, v210
	v_add_f32_e32 v12, v35, v12
	v_sub_f32_e32 v29, v209, v52
	v_add_f32_e32 v15, v25, v15
	v_add_f32_e32 v24, v24, v28
	;; [unrolled: 1-line block ×5, first 2 shown]
	v_sub_f32_e32 v108, v227, v122
	v_add_f32_e32 v110, v111, v110
	v_add_f32_e32 v111, v112, v214
	;; [unrolled: 1-line block ×7, first 2 shown]
	v_sub_f32_e32 v29, v221, v54
	v_add_f32_e32 v15, v27, v15
	v_add_f32_e32 v24, v26, v24
	v_sub_f32_e32 v120, v186, v142
	v_add_f32_e32 v105, v105, v93
	v_add_f32_e32 v74, v136, v74
	;; [unrolled: 1-line block ×3, first 2 shown]
	v_sub_f32_e32 v108, v239, v125
	v_add_f32_e32 v110, v111, v110
	v_add_f32_e32 v111, v113, v226
	v_sub_f32_e32 v97, v225, v97
	v_add_f32_e32 v83, v83, v89
	v_add_f32_e32 v84, v84, v224
	v_add_f32_e32 v13, v32, v13
	v_add_f32_e32 v25, v58, v234
	v_add_f32_e32 v12, v29, v12
	v_sub_f32_e32 v28, v233, v56
	v_add_f32_e32 v15, v21, v15
	v_add_f32_e32 v20, v20, v24
	v_add_f32_e32 v93, v120, v96
	;; [unrolled: 6-line block ×3, first 2 shown]
	v_sub_f32_e32 v98, v237, v98
	v_add_f32_e32 v83, v84, v83
	v_add_f32_e32 v84, v90, v236
	;; [unrolled: 1-line block ×5, first 2 shown]
	v_sub_f32_e32 v21, v245, v57
	v_add_f32_e32 v15, v23, v15
	v_add_f32_e32 v20, v22, v20
	v_add_f32_e32 v96, v105, v96
	v_sub_f32_e32 v105, v184, v128
	v_add_f32_e32 v106, v108, v106
	v_add_f32_e32 v108, v109, v189
	v_add_f32_e32 v97, v98, v97
	;; [unrolled: 4-line block ×3, first 2 shown]
	v_add_f32_e32 v24, v61, v193
	v_add_f32_e32 v12, v21, v12
	v_sub_f32_e32 v21, v117, v59
	v_add_f32_e32 v15, v17, v15
	v_add_f32_e32 v16, v16, v20
	;; [unrolled: 1-line block ×6, first 2 shown]
	v_sub_f32_e32 v89, v179, v100
	v_add_f32_e32 v82, v84, v83
	v_add_f32_e32 v76, v76, v254
	;; [unrolled: 1-line block ×5, first 2 shown]
	v_sub_f32_e32 v20, v185, v62
	v_add_f32_e32 v19, v19, v15
	v_add_f32_e32 v18, v18, v16
	v_mov_b32_e32 v21, 3
	v_add_f32_e32 v105, v106, v105
	v_add_f32_e32 v106, v118, v183
	;; [unrolled: 1-line block ×3, first 2 shown]
	v_sub_f32_e32 v81, v95, v104
	v_add_f32_e32 v37, v76, v82
	v_add_f32_e32 v71, v80, v196
	v_sub_f32_e32 v34, v180, v75
	v_add_f32_e32 v110, v137, v208
	v_sub_f32_e32 v103, v171, v130
	v_sub_f32_e32 v119, v172, v166
	v_add_f32_e32 v16, v17, v13
	v_add_f32_e32 v15, v20, v12
	;; [unrolled: 1-line block ×4, first 2 shown]
	v_lshlrev_b32_sdwa v12, v21, v88 dst_sel:DWORD dst_unused:UNUSED_PAD src0_sel:DWORD src1_sel:WORD_0
	v_add_f32_e32 v91, v106, v105
	v_add_f32_e32 v90, v81, v79
	;; [unrolled: 1-line block ×7, first 2 shown]
	ds_write2_b64 v12, v[8:9], v[15:16] offset1:1
	ds_write2_b64 v12, v[13:14], v[90:91] offset0:2 offset1:3
	ds_write2_b64 v12, v[73:74], v[93:94] offset0:4 offset1:5
	ds_write2_b64 v12, v[71:72], v[66:67] offset0:6 offset1:7
	ds_write2_b64 v12, v[44:45], v[46:47] offset0:8 offset1:9
	ds_write2_b64 v12, v[64:65], v[10:11] offset0:10 offset1:11
	ds_write2_b64 v12, v[4:5], v[6:7] offset0:12 offset1:13
	ds_write2_b64 v12, v[0:1], v[2:3] offset0:14 offset1:15
	ds_write_b64 v12, v[69:70] offset:128
.LBB0_7:
	s_or_b32 exec_lo, exec_lo, s4
	v_and_b32_e32 v8, 0xff, v87
	s_load_dwordx4 s[4:7], s[0:1], 0x0
	s_waitcnt lgkmcnt(0)
	s_barrier
	buffer_gl0_inv
	v_mul_lo_u16 v8, 0xf1, v8
	v_cmp_gt_u16_e64 s0, 0x88, v87
	v_lshrrev_b16 v40, 12, v8
	v_mul_lo_u16 v8, v40, 17
	v_sub_nc_u16 v8, v87, v8
	v_and_b32_e32 v41, 0xff, v8
	v_mad_u64_u32 v[8:9], null, v41, 56, s[2:3]
	s_clause 0x3
	global_load_dwordx4 v[24:27], v[8:9], off
	global_load_dwordx4 v[16:19], v[8:9], off offset:16
	global_load_dwordx4 v[12:15], v[8:9], off offset:32
	global_load_dwordx2 v[71:72], v[8:9], off offset:48
	v_add_nc_u32_e32 v8, 0xa00, v86
	v_add_nc_u32_e32 v9, 0x1600, v86
	ds_read2_b64 v[20:23], v86 offset1:187
	ds_read2_b64 v[28:31], v8 offset0:54 offset1:241
	v_add_nc_u32_e32 v8, 0x2200, v86
	ds_read2_b64 v[32:35], v9 offset0:44 offset1:231
	v_mov_b32_e32 v9, 0x88
	ds_read2_b64 v[36:39], v8 offset0:34 offset1:221
	s_waitcnt vmcnt(0) lgkmcnt(0)
	v_mul_u32_u24_sdwa v8, v40, v9 dst_sel:DWORD dst_unused:UNUSED_PAD src0_sel:WORD_0 src1_sel:DWORD
	s_barrier
	buffer_gl0_inv
	v_add_lshl_u32 v89, v8, v41, 3
	v_mul_f32_e32 v8, v23, v25
	v_mul_f32_e32 v9, v22, v25
	;; [unrolled: 1-line block ×14, first 2 shown]
	v_fma_f32 v8, v22, v24, -v8
	v_fmac_f32_e32 v9, v23, v24
	v_fma_f32 v22, v28, v26, -v40
	v_fmac_f32_e32 v41, v29, v26
	;; [unrolled: 2-line block ×7, first 2 shown]
	v_sub_f32_e32 v28, v20, v28
	v_sub_f32_e32 v32, v21, v49
	v_sub_f32_e32 v30, v22, v30
	v_sub_f32_e32 v33, v41, v53
	v_sub_f32_e32 v29, v8, v29
	v_sub_f32_e32 v34, v9, v51
	v_sub_f32_e32 v31, v23, v31
	v_sub_f32_e32 v35, v43, v55
	v_fma_f32 v20, v20, 2.0, -v28
	v_fma_f32 v21, v21, 2.0, -v32
	;; [unrolled: 1-line block ×8, first 2 shown]
	v_sub_f32_e32 v33, v28, v33
	v_add_f32_e32 v30, v32, v30
	v_sub_f32_e32 v35, v29, v35
	v_add_f32_e32 v31, v34, v31
	v_sub_f32_e32 v22, v20, v22
	v_sub_f32_e32 v36, v21, v36
	v_fma_f32 v28, v28, 2.0, -v33
	v_fma_f32 v32, v32, 2.0, -v30
	v_sub_f32_e32 v23, v8, v23
	v_sub_f32_e32 v37, v9, v37
	v_fma_f32 v29, v29, 2.0, -v35
	v_fma_f32 v34, v34, 2.0, -v31
	v_fmamk_f32 v54, v35, 0x3f3504f3, v33
	v_fmamk_f32 v55, v31, 0x3f3504f3, v30
	v_fma_f32 v20, v20, 2.0, -v22
	v_fma_f32 v21, v21, 2.0, -v36
	;; [unrolled: 1-line block ×4, first 2 shown]
	v_fmamk_f32 v58, v29, 0xbf3504f3, v28
	v_fmamk_f32 v59, v34, 0xbf3504f3, v32
	v_sub_f32_e32 v52, v22, v37
	v_add_f32_e32 v53, v36, v23
	v_fmac_f32_e32 v54, 0xbf3504f3, v31
	v_fmac_f32_e32 v55, 0x3f3504f3, v35
	v_sub_f32_e32 v56, v20, v8
	v_sub_f32_e32 v57, v21, v9
	v_fmac_f32_e32 v58, 0xbf3504f3, v34
	v_fmac_f32_e32 v59, 0x3f3504f3, v29
	v_fma_f32 v60, v22, 2.0, -v52
	v_fma_f32 v61, v36, 2.0, -v53
	;; [unrolled: 1-line block ×8, first 2 shown]
	ds_write2_b64 v89, v[52:53], v[54:55] offset0:102 offset1:119
	ds_write2_b64 v89, v[60:61], v[62:63] offset0:34 offset1:51
	;; [unrolled: 1-line block ×3, first 2 shown]
	ds_write2_b64 v89, v[48:49], v[50:51] offset1:17
	s_waitcnt lgkmcnt(0)
	s_barrier
	buffer_gl0_inv
	s_and_saveexec_b32 s1, s0
	s_cbranch_execz .LBB0_9
; %bb.8:
	v_add_nc_u32_e32 v8, 0x800, v86
	v_add_nc_u32_e32 v9, 0x1000, v86
	;; [unrolled: 1-line block ×4, first 2 shown]
	ds_read2_b64 v[48:51], v86 offset1:136
	ds_read2_b64 v[60:63], v8 offset0:16 offset1:152
	ds_read2_b64 v[56:59], v9 offset0:32 offset1:168
	;; [unrolled: 1-line block ×4, first 2 shown]
	ds_read_b64 v[64:65], v86 offset:10880
.LBB0_9:
	s_or_b32 exec_lo, exec_lo, s1
	v_add_nc_u32_e32 v8, 0xffffff78, v87
	v_cndmask_b32_e64 v8, v8, v87, s0
	v_mul_i32_i24_e32 v9, 0x50, v8
	v_mul_hi_i32_i24_e32 v20, 0x50, v8
	v_add_co_u32 v8, s1, s2, v9
	v_add_co_ci_u32_e64 v9, s1, s3, v20, s1
	s_clause 0x4
	global_load_dwordx4 v[36:39], v[8:9], off offset:952
	global_load_dwordx4 v[28:31], v[8:9], off offset:968
	;; [unrolled: 1-line block ×5, first 2 shown]
	s_waitcnt vmcnt(4) lgkmcnt(5)
	v_mul_f32_e32 v75, v51, v37
	v_mul_f32_e32 v76, v50, v37
	s_waitcnt lgkmcnt(4)
	v_mul_f32_e32 v77, v61, v39
	v_mul_f32_e32 v78, v60, v39
	s_waitcnt vmcnt(1) lgkmcnt(1)
	v_mul_f32_e32 v91, v45, v35
	v_mul_f32_e32 v8, v44, v35
	s_waitcnt vmcnt(0)
	v_mul_f32_e32 v92, v47, v41
	v_mul_f32_e32 v73, v46, v41
	s_waitcnt lgkmcnt(0)
	v_mul_f32_e32 v93, v65, v43
	v_mul_f32_e32 v74, v64, v43
	v_fma_f32 v75, v50, v36, -v75
	v_fmac_f32_e32 v76, v51, v36
	v_mul_f32_e32 v79, v63, v29
	v_mul_f32_e32 v80, v62, v29
	v_mul_f32_e32 v81, v57, v31
	v_mul_f32_e32 v82, v56, v31
	v_mul_f32_e32 v83, v59, v21
	v_mul_f32_e32 v67, v58, v21
	v_mul_f32_e32 v84, v53, v23
	v_mul_f32_e32 v66, v52, v23
	v_mul_f32_e32 v90, v55, v33
	v_mul_f32_e32 v9, v54, v33
	v_fma_f32 v60, v60, v38, -v77
	v_fmac_f32_e32 v78, v61, v38
	v_fma_f32 v50, v44, v34, -v91
	v_fmac_f32_e32 v8, v45, v34
	v_fma_f32 v45, v46, v40, -v92
	v_fma_f32 v44, v64, v42, -v93
	v_fmac_f32_e32 v74, v65, v42
	v_fmac_f32_e32 v73, v47, v40
	v_add_f32_e32 v46, v48, v75
	v_add_f32_e32 v47, v49, v76
	v_fma_f32 v61, v62, v28, -v79
	v_fmac_f32_e32 v80, v63, v28
	v_fma_f32 v56, v56, v30, -v81
	v_fmac_f32_e32 v82, v57, v30
	;; [unrolled: 2-line block ×5, first 2 shown]
	v_sub_f32_e32 v55, v75, v44
	v_sub_f32_e32 v58, v76, v74
	v_add_f32_e32 v46, v46, v60
	v_add_f32_e32 v47, v47, v78
	;; [unrolled: 1-line block ×6, first 2 shown]
	v_sub_f32_e32 v63, v60, v45
	v_sub_f32_e32 v64, v78, v73
	;; [unrolled: 1-line block ×8, first 2 shown]
	v_mul_f32_e32 v60, 0xbf0a6770, v58
	v_mul_f32_e32 v78, 0xbf0a6770, v55
	;; [unrolled: 1-line block ×10, first 2 shown]
	v_add_f32_e32 v46, v46, v61
	v_add_f32_e32 v47, v47, v80
	;; [unrolled: 1-line block ×8, first 2 shown]
	v_mul_f32_e32 v100, 0xbf68dda4, v64
	v_mul_f32_e32 v101, 0xbf68dda4, v63
	;; [unrolled: 1-line block ×40, first 2 shown]
	v_fma_f32 v61, 0x3f575c64, v53, -v60
	v_fmamk_f32 v80, v54, 0x3f575c64, v78
	v_fmac_f32_e32 v60, 0x3f575c64, v53
	v_fma_f32 v78, 0x3f575c64, v54, -v78
	v_fma_f32 v132, 0x3ed4b147, v53, -v94
	v_fmamk_f32 v133, v54, 0x3ed4b147, v95
	v_fmac_f32_e32 v94, 0x3ed4b147, v53
	v_fma_f32 v95, 0x3ed4b147, v54, -v95
	;; [unrolled: 4-line block ×5, first 2 shown]
	v_add_f32_e32 v46, v46, v56
	v_add_f32_e32 v47, v47, v82
	v_fma_f32 v54, 0x3ed4b147, v59, -v100
	v_fmamk_f32 v55, v62, 0x3ed4b147, v101
	v_fmac_f32_e32 v100, 0x3ed4b147, v59
	v_fma_f32 v101, 0x3ed4b147, v62, -v101
	v_fma_f32 v140, 0xbf27a4f4, v59, -v102
	v_fmamk_f32 v141, v62, 0xbf27a4f4, v103
	v_fmac_f32_e32 v102, 0xbf27a4f4, v59
	v_fma_f32 v103, 0xbf27a4f4, v62, -v103
	;; [unrolled: 4-line block ×20, first 2 shown]
	v_add_f32_e32 v56, v48, v61
	v_add_f32_e32 v61, v49, v80
	;; [unrolled: 1-line block ×112, first 2 shown]
	s_and_saveexec_b32 s1, s0
	s_cbranch_execz .LBB0_11
; %bb.10:
	v_add_nc_u32_e32 v60, 0x800, v86
	v_add_nc_u32_e32 v61, 0x1000, v86
	;; [unrolled: 1-line block ×4, first 2 shown]
	ds_write2_b64 v86, v[44:45], v[46:47] offset1:136
	ds_write2_b64 v60, v[52:53], v[54:55] offset0:16 offset1:152
	ds_write2_b64 v61, v[48:49], v[50:51] offset0:32 offset1:168
	;; [unrolled: 1-line block ×4, first 2 shown]
	ds_write_b64 v86, v[8:9] offset:10880
.LBB0_11:
	s_or_b32 exec_lo, exec_lo, s1
	s_waitcnt lgkmcnt(0)
	s_barrier
	buffer_gl0_inv
	s_and_saveexec_b32 s12, vcc_lo
	s_cbranch_execz .LBB0_13
; %bb.12:
	s_add_u32 s2, s8, 0x2ec0
	s_addc_u32 s3, s9, 0
	v_add_co_u32 v77, s1, s2, v86
	global_load_dwordx2 v[60:61], v86, s[2:3]
	v_add_co_ci_u32_e64 v78, null, s3, 0, s1
	v_add_co_u32 v62, s1, 0x800, v77
	s_clause 0x1
	global_load_dwordx2 v[106:107], v86, s[2:3] offset:704
	global_load_dwordx2 v[108:109], v86, s[2:3] offset:1408
	v_add_co_ci_u32_e64 v63, s1, 0, v78, s1
	v_add_co_u32 v73, s1, 0x1000, v77
	v_add_co_ci_u32_e64 v74, s1, 0, v78, s1
	v_add_co_u32 v75, s1, 0x1800, v77
	v_add_co_ci_u32_e64 v76, s1, 0, v78, s1
	s_clause 0x4
	global_load_dwordx2 v[110:111], v[62:63], off offset:64
	global_load_dwordx2 v[112:113], v[62:63], off offset:768
	;; [unrolled: 1-line block ×5, first 2 shown]
	v_add_co_u32 v62, s1, 0x2000, v77
	v_add_co_ci_u32_e64 v63, s1, 0, v78, s1
	s_clause 0x4
	global_load_dwordx2 v[120:121], v[73:74], off offset:1536
	global_load_dwordx2 v[122:123], v[75:76], off offset:192
	global_load_dwordx2 v[124:125], v[75:76], off offset:896
	global_load_dwordx2 v[126:127], v[75:76], off offset:1600
	global_load_dwordx2 v[128:129], v[62:63], off offset:256
	v_add_co_u32 v73, s1, 0x2800, v77
	v_add_co_ci_u32_e64 v74, s1, 0, v78, s1
	v_or_b32_e32 v75, 0x2c00, v86
	s_clause 0x3
	global_load_dwordx2 v[130:131], v[62:63], off offset:960
	global_load_dwordx2 v[132:133], v[62:63], off offset:1664
	global_load_dwordx2 v[134:135], v[73:74], off offset:320
	global_load_dwordx2 v[136:137], v75, s[2:3]
	ds_read_b64 v[62:63], v86
	v_add_nc_u32_e32 v139, 0x800, v86
	v_add_nc_u32_e32 v140, 0xc00, v86
	;; [unrolled: 1-line block ×7, first 2 shown]
	s_waitcnt vmcnt(16) lgkmcnt(0)
	v_mul_f32_e32 v73, v63, v61
	v_mul_f32_e32 v74, v62, v61
	v_fma_f32 v73, v62, v60, -v73
	v_fmac_f32_e32 v74, v63, v60
	ds_write_b64 v86, v[73:74]
	ds_read2_b64 v[60:63], v86 offset0:88 offset1:176
	ds_read2_b64 v[73:76], v139 offset0:8 offset1:96
	;; [unrolled: 1-line block ×8, first 2 shown]
	s_waitcnt vmcnt(15) lgkmcnt(7)
	v_mul_f32_e32 v146, v61, v107
	v_mul_f32_e32 v138, v60, v107
	s_waitcnt vmcnt(14)
	v_mul_f32_e32 v147, v63, v109
	v_mul_f32_e32 v107, v62, v109
	s_waitcnt vmcnt(13) lgkmcnt(6)
	v_mul_f32_e32 v148, v74, v111
	v_mul_f32_e32 v109, v73, v111
	s_waitcnt vmcnt(12)
	v_mul_f32_e32 v149, v76, v113
	v_mul_f32_e32 v111, v75, v113
	;; [unrolled: 6-line block ×8, first 2 shown]
	v_fma_f32 v137, v60, v106, -v146
	v_fmac_f32_e32 v138, v61, v106
	v_fma_f32 v106, v62, v108, -v147
	v_fmac_f32_e32 v107, v63, v108
	;; [unrolled: 2-line block ×16, first 2 shown]
	ds_write2_b64 v86, v[137:138], v[106:107] offset0:88 offset1:176
	ds_write2_b64 v139, v[108:109], v[110:111] offset0:8 offset1:96
	;; [unrolled: 1-line block ×8, first 2 shown]
.LBB0_13:
	s_or_b32 exec_lo, exec_lo, s12
	s_waitcnt lgkmcnt(0)
	s_barrier
	buffer_gl0_inv
	s_and_saveexec_b32 s1, vcc_lo
	s_cbranch_execz .LBB0_15
; %bb.14:
	v_add_nc_u32_e32 v0, 0x400, v86
	v_add_nc_u32_e32 v1, 0x800, v86
	v_add_nc_u32_e32 v2, 0x1000, v86
	ds_read2_b64 v[44:47], v86 offset1:88
	v_add_nc_u32_e32 v3, 0x2000, v86
	ds_read2_b64 v[52:55], v0 offset0:48 offset1:136
	ds_read2_b64 v[48:51], v1 offset0:96 offset1:184
	v_add_nc_u32_e32 v0, 0x1400, v86
	v_add_nc_u32_e32 v1, 0x1800, v86
	;; [unrolled: 1-line block ×3, first 2 shown]
	ds_read2_b64 v[64:67], v2 offset0:16 offset1:104
	ds_read2_b64 v[56:59], v0 offset0:64 offset1:152
	;; [unrolled: 1-line block ×5, first 2 shown]
	ds_read_b64 v[69:70], v86 offset:11264
.LBB0_15:
	s_or_b32 exec_lo, exec_lo, s1
	s_waitcnt lgkmcnt(0)
	v_sub_f32_e32 v106, v47, v70
	v_add_f32_e32 v110, v70, v47
	v_add_f32_e32 v90, v69, v46
	v_sub_f32_e32 v107, v53, v3
	v_sub_f32_e32 v91, v46, v69
	v_mul_f32_e32 v75, 0xbf06c442, v106
	v_mul_f32_e32 v77, 0xbf59a7d5, v110
	;; [unrolled: 1-line block ×3, first 2 shown]
	v_add_f32_e32 v112, v3, v53
	v_add_f32_e32 v92, v2, v52
	v_fma_f32 v62, 0xbf59a7d5, v90, -v75
	v_mul_f32_e32 v76, 0x3f65296c, v107
	v_mul_f32_e32 v60, 0xbe3c28d5, v106
	v_fmamk_f32 v63, v91, 0xbf06c442, v77
	v_fmamk_f32 v74, v91, 0x3e3c28d5, v61
	v_add_f32_e32 v62, v44, v62
	v_sub_f32_e32 v93, v52, v2
	v_mul_f32_e32 v78, 0x3ee437d1, v112
	v_fma_f32 v80, 0x3ee437d1, v92, -v76
	v_mul_f32_e32 v82, 0x3f6eb680, v112
	v_fmamk_f32 v73, v90, 0xbf7ba420, v60
	v_fma_f32 v60, 0xbf7ba420, v90, -v60
	v_add_f32_e32 v63, v45, v63
	v_add_f32_e32 v74, v45, v74
	v_fmac_f32_e32 v61, 0xbe3c28d5, v91
	v_mul_f32_e32 v79, 0x3eb8f4ab, v107
	v_fmamk_f32 v81, v93, 0x3f65296c, v78
	v_add_f32_e32 v62, v80, v62
	v_fmamk_f32 v80, v93, 0xbeb8f4ab, v82
	v_sub_f32_e32 v108, v55, v1
	v_add_f32_e32 v114, v1, v55
	v_add_f32_e32 v60, v44, v60
	;; [unrolled: 1-line block ×3, first 2 shown]
	v_fmamk_f32 v83, v92, 0x3f6eb680, v79
	v_add_f32_e32 v63, v81, v63
	v_fma_f32 v79, 0x3f6eb680, v92, -v79
	v_add_f32_e32 v74, v80, v74
	v_add_f32_e32 v94, v0, v54
	v_sub_f32_e32 v95, v54, v0
	v_mul_f32_e32 v81, 0x3dbcf732, v114
	v_fmac_f32_e32 v82, 0x3eb8f4ab, v93
	v_mul_f32_e32 v80, 0xbf06c442, v108
	v_add_f32_e32 v73, v44, v73
	v_add_f32_e32 v60, v79, v60
	v_mul_f32_e32 v79, 0xbf7ee86f, v108
	v_fmamk_f32 v96, v95, 0xbf7ee86f, v81
	v_add_f32_e32 v61, v82, v61
	v_fmamk_f32 v82, v94, 0xbf59a7d5, v80
	v_fma_f32 v80, 0xbf59a7d5, v94, -v80
	v_sub_f32_e32 v109, v49, v7
	v_add_f32_e32 v73, v83, v73
	v_fma_f32 v83, 0x3dbcf732, v94, -v79
	v_mul_f32_e32 v84, 0xbf59a7d5, v114
	v_add_f32_e32 v63, v96, v63
	v_add_f32_e32 v117, v7, v49
	;; [unrolled: 1-line block ×4, first 2 shown]
	v_mul_f32_e32 v80, 0x3f4c4adb, v109
	v_add_f32_e32 v62, v83, v62
	v_fmamk_f32 v83, v95, 0x3f06c442, v84
	v_add_f32_e32 v73, v82, v73
	v_sub_f32_e32 v97, v48, v6
	v_fmac_f32_e32 v84, 0xbf06c442, v95
	v_mul_f32_e32 v82, 0x3f2c7751, v109
	v_fma_f32 v98, 0xbf1a4643, v96, -v80
	v_mul_f32_e32 v100, 0x3f3d2fb0, v117
	v_add_f32_e32 v74, v83, v74
	v_mul_f32_e32 v83, 0xbf1a4643, v117
	v_add_f32_e32 v61, v84, v61
	v_fmamk_f32 v84, v96, 0x3f3d2fb0, v82
	v_add_f32_e32 v62, v98, v62
	v_fmamk_f32 v98, v97, 0xbf2c7751, v100
	v_fma_f32 v82, 0x3f3d2fb0, v96, -v82
	v_sub_f32_e32 v111, v51, v5
	v_fmamk_f32 v99, v97, 0x3f4c4adb, v83
	v_add_f32_e32 v116, v5, v51
	v_add_f32_e32 v74, v98, v74
	v_add_f32_e32 v60, v82, v60
	v_add_f32_e32 v98, v4, v50
	v_mul_f32_e32 v82, 0xbeb8f4ab, v111
	v_add_f32_e32 v63, v99, v63
	v_sub_f32_e32 v99, v50, v4
	v_mul_f32_e32 v102, 0xbf1a4643, v116
	v_add_f32_e32 v73, v84, v73
	v_fma_f32 v101, 0x3f6eb680, v98, -v82
	v_mul_f32_e32 v122, 0x3f6eb680, v116
	v_fmac_f32_e32 v100, 0x3f2c7751, v97
	v_mul_f32_e32 v84, 0xbf4c4adb, v111
	v_add_f32_e32 v118, v11, v65
	v_add_f32_e32 v62, v101, v62
	v_fmamk_f32 v101, v99, 0x3f4c4adb, v102
	v_fmamk_f32 v103, v99, 0xbeb8f4ab, v122
	v_add_f32_e32 v61, v100, v61
	v_fmamk_f32 v100, v98, 0xbf1a4643, v84
	v_fma_f32 v84, 0xbf1a4643, v98, -v84
	v_sub_f32_e32 v113, v65, v11
	v_add_f32_e32 v74, v101, v74
	v_sub_f32_e32 v101, v64, v10
	v_mul_f32_e32 v123, 0xbf7ba420, v118
	v_add_f32_e32 v63, v103, v63
	v_add_f32_e32 v73, v100, v73
	;; [unrolled: 1-line block ×4, first 2 shown]
	v_mul_f32_e32 v84, 0xbe3c28d5, v113
	v_fmac_f32_e32 v102, 0xbf4c4adb, v99
	v_mul_f32_e32 v103, 0x3f65296c, v113
	v_fmamk_f32 v115, v101, 0xbe3c28d5, v123
	v_mul_f32_e32 v105, 0x3ee437d1, v118
	v_fma_f32 v104, 0xbf7ba420, v100, -v84
	v_add_f32_e32 v61, v102, v61
	v_fmamk_f32 v102, v100, 0x3ee437d1, v103
	v_add_f32_e32 v63, v115, v63
	v_sub_f32_e32 v115, v67, v9
	v_add_f32_e32 v62, v104, v62
	v_fmamk_f32 v104, v101, 0xbf65296c, v105
	v_fma_f32 v103, 0x3ee437d1, v100, -v103
	v_add_f32_e32 v73, v102, v73
	v_add_f32_e32 v120, v9, v67
	;; [unrolled: 1-line block ×3, first 2 shown]
	v_mul_f32_e32 v125, 0x3f2c7751, v115
	v_add_f32_e32 v74, v104, v74
	v_add_f32_e32 v60, v103, v60
	v_sub_f32_e32 v103, v66, v8
	v_mul_f32_e32 v124, 0x3f3d2fb0, v120
	v_fmac_f32_e32 v105, 0x3f65296c, v101
	v_mul_f32_e32 v104, 0xbf763a35, v115
	v_fma_f32 v119, 0x3f3d2fb0, v102, -v125
	v_mul_f32_e32 v127, 0xbe8c1d8e, v120
	v_fmamk_f32 v121, v103, 0x3f2c7751, v124
	v_add_f32_e32 v61, v105, v61
	v_fmamk_f32 v105, v102, 0xbe8c1d8e, v104
	v_add_f32_e32 v62, v119, v62
	v_sub_f32_e32 v119, v57, v59
	v_fmamk_f32 v126, v103, 0x3f763a35, v127
	v_add_f32_e32 v63, v121, v63
	v_add_f32_e32 v128, v105, v73
	v_fma_f32 v73, 0xbe8c1d8e, v102, -v104
	v_add_f32_e32 v104, v58, v56
	v_mul_f32_e32 v129, 0xbf763a35, v119
	v_add_f32_e32 v121, v59, v57
	v_add_f32_e32 v130, v126, v74
	;; [unrolled: 1-line block ×3, first 2 shown]
	v_fmac_f32_e32 v127, 0xbf763a35, v103
	v_sub_f32_e32 v105, v56, v58
	v_fma_f32 v60, 0xbe8c1d8e, v104, -v129
	v_mul_f32_e32 v126, 0xbe8c1d8e, v121
	v_mul_f32_e32 v74, 0x3f7ee86f, v119
	;; [unrolled: 1-line block ×3, first 2 shown]
	v_add_f32_e32 v127, v127, v61
	v_add_f32_e32 v73, v60, v62
	v_fmamk_f32 v60, v105, 0xbf763a35, v126
	v_fmamk_f32 v61, v104, 0x3dbcf732, v74
	;; [unrolled: 1-line block ×3, first 2 shown]
	v_fma_f32 v133, 0x3dbcf732, v104, -v74
	v_fmac_f32_e32 v132, 0x3f7ee86f, v105
	v_add_f32_e32 v74, v60, v63
	v_add_f32_e32 v60, v61, v128
	;; [unrolled: 1-line block ×5, first 2 shown]
	s_barrier
	buffer_gl0_inv
	s_and_saveexec_b32 s1, vcc_lo
	s_cbranch_execz .LBB0_17
; %bb.16:
	v_mul_f32_e32 v127, 0xbf06c442, v91
	v_mul_f32_e32 v131, 0x3f65296c, v93
	;; [unrolled: 1-line block ×5, first 2 shown]
	v_sub_f32_e32 v77, v77, v127
	v_mul_f32_e32 v127, 0xbf7ee86f, v95
	v_sub_f32_e32 v78, v78, v131
	v_mul_f32_e32 v135, 0xbeb8f4ab, v99
	v_sub_f32_e32 v83, v83, v134
	v_add_f32_e32 v77, v45, v77
	v_sub_f32_e32 v81, v81, v127
	v_add_f32_e32 v75, v128, v75
	v_mul_f32_e32 v132, 0x3dbcf732, v94
	v_sub_f32_e32 v122, v122, v135
	v_add_f32_e32 v77, v78, v77
	v_mul_f32_e32 v78, 0xbe3c28d5, v101
	v_add_f32_e32 v76, v130, v76
	v_add_f32_e32 v75, v44, v75
	v_mul_f32_e32 v133, 0xbf1a4643, v96
	v_add_f32_e32 v77, v81, v77
	v_mul_f32_e32 v81, 0x3f2c7751, v103
	v_sub_f32_e32 v78, v123, v78
	v_add_f32_e32 v79, v132, v79
	v_add_f32_e32 v75, v76, v75
	;; [unrolled: 1-line block ×3, first 2 shown]
	v_mul_f32_e32 v131, 0x3f6eb680, v98
	v_mul_f32_e32 v128, 0xbf1a4643, v110
	v_add_f32_e32 v80, v133, v80
	v_add_f32_e32 v75, v79, v75
	;; [unrolled: 1-line block ×3, first 2 shown]
	v_sub_f32_e32 v77, v124, v81
	v_mul_f32_e32 v136, 0xbf7ba420, v100
	v_mul_f32_e32 v124, 0xbe8c1d8e, v112
	v_fmamk_f32 v79, v91, 0x3f4c4adb, v128
	v_add_f32_e32 v76, v78, v76
	v_mul_f32_e32 v78, 0xbf763a35, v105
	v_add_f32_e32 v75, v80, v75
	v_mul_f32_e32 v127, 0x3f3d2fb0, v102
	v_add_f32_e32 v79, v45, v79
	v_add_f32_e32 v76, v77, v76
	;; [unrolled: 1-line block ×3, first 2 shown]
	v_sub_f32_e32 v78, v126, v78
	v_fmamk_f32 v80, v93, 0xbf763a35, v124
	v_mul_f32_e32 v122, 0x3f6eb680, v114
	v_mul_f32_e32 v123, 0xbf59a7d5, v117
	v_add_f32_e32 v75, v77, v75
	v_add_f32_e32 v77, v136, v84
	v_add_f32_e32 v76, v78, v76
	v_add_f32_e32 v78, v80, v79
	v_fmamk_f32 v79, v95, 0x3eb8f4ab, v122
	v_mul_f32_e32 v139, 0xbf4c4adb, v106
	v_add_f32_e32 v75, v77, v75
	v_add_f32_e32 v77, v127, v125
	v_mul_f32_e32 v125, 0x3dbcf732, v116
	v_add_f32_e32 v78, v79, v78
	v_fmamk_f32 v79, v97, 0x3f06c442, v123
	v_mul_f32_e32 v140, 0x3f763a35, v107
	v_add_f32_e32 v75, v77, v75
	v_fmamk_f32 v77, v90, 0xbf1a4643, v139
	;; [unrolled: 3-line block ×3, first 2 shown]
	v_fmamk_f32 v80, v92, 0xbe8c1d8e, v140
	v_add_f32_e32 v77, v44, v77
	v_mul_f32_e32 v131, 0xbeb8f4ab, v108
	v_mul_f32_e32 v127, 0xbf7ba420, v120
	v_add_f32_e32 v78, v79, v78
	v_fmamk_f32 v79, v101, 0x3f2c7751, v126
	v_add_f32_e32 v77, v80, v77
	v_fmamk_f32 v80, v94, 0x3f6eb680, v131
	v_mul_f32_e32 v132, 0xbf06c442, v109
	v_mul_f32_e32 v83, 0xbe8c1d8e, v104
	v_add_f32_e32 v78, v79, v78
	v_fmamk_f32 v79, v103, 0x3e3c28d5, v127
	v_add_f32_e32 v77, v80, v77
	v_fmamk_f32 v80, v96, 0xbf59a7d5, v132
	v_mul_f32_e32 v133, 0x3f7ee86f, v111
	v_mul_f32_e32 v150, 0xbe8c1d8e, v110
	v_add_f32_e32 v81, v83, v129
	v_add_f32_e32 v78, v79, v78
	;; [unrolled: 1-line block ×3, first 2 shown]
	v_fmamk_f32 v79, v98, 0x3dbcf732, v133
	v_mul_f32_e32 v137, 0xbf2c7751, v113
	v_fmamk_f32 v80, v91, 0x3f763a35, v150
	v_mul_f32_e32 v151, 0xbf59a7d5, v112
	v_add_f32_e32 v75, v81, v75
	v_add_f32_e32 v77, v79, v77
	v_fmamk_f32 v79, v100, 0x3f3d2fb0, v137
	v_mul_f32_e32 v138, 0xbe3c28d5, v115
	v_add_f32_e32 v80, v45, v80
	v_fmamk_f32 v81, v93, 0xbf06c442, v151
	v_mul_f32_e32 v152, 0x3f3d2fb0, v114
	v_mul_f32_e32 v134, 0x3ee437d1, v121
	v_add_f32_e32 v77, v79, v77
	v_fmamk_f32 v79, v102, 0xbf7ba420, v138
	v_add_f32_e32 v80, v81, v80
	v_fmamk_f32 v81, v95, 0xbf2c7751, v152
	v_mul_f32_e32 v153, 0x3ee437d1, v117
	v_mul_f32_e32 v148, 0xbf763a35, v106
	v_fmamk_f32 v82, v105, 0xbf65296c, v134
	v_add_f32_e32 v77, v79, v77
	v_add_f32_e32 v79, v81, v80
	v_fmamk_f32 v80, v97, 0x3f65296c, v153
	v_mul_f32_e32 v158, 0xbf7ba420, v116
	v_fmamk_f32 v81, v90, 0xbe8c1d8e, v148
	v_mul_f32_e32 v149, 0x3f06c442, v107
	v_add_f32_e32 v78, v82, v78
	v_add_f32_e32 v79, v80, v79
	v_fmamk_f32 v80, v99, 0x3e3c28d5, v158
	v_mul_f32_e32 v155, 0x3dbcf732, v118
	v_add_f32_e32 v81, v44, v81
	v_fmamk_f32 v82, v92, 0xbf59a7d5, v149
	v_mul_f32_e32 v141, 0x3f2c7751, v108
	;; [unrolled: 3-line block ×4, first 2 shown]
	v_mul_f32_e32 v154, 0x3f65296c, v119
	v_add_f32_e32 v79, v80, v79
	v_fmamk_f32 v80, v103, 0x3eb8f4ab, v142
	v_add_f32_e32 v81, v82, v81
	v_fmamk_f32 v82, v96, 0x3ee437d1, v129
	v_mul_f32_e32 v130, 0xbe3c28d5, v111
	v_mul_f32_e32 v159, 0x3dbcf732, v110
	v_fmamk_f32 v83, v104, 0x3ee437d1, v154
	v_add_f32_e32 v79, v80, v79
	v_add_f32_e32 v80, v82, v81
	v_fmamk_f32 v81, v98, 0xbf7ba420, v130
	v_mul_f32_e32 v135, 0x3f7ee86f, v113
	v_fmamk_f32 v82, v91, 0x3f7ee86f, v159
	v_mul_f32_e32 v143, 0xbf7ba420, v112
	v_add_f32_e32 v77, v83, v77
	v_mul_f32_e32 v160, 0xbf1a4643, v121
	v_add_f32_e32 v80, v81, v80
	v_fmamk_f32 v81, v100, 0x3dbcf732, v135
	v_mul_f32_e32 v136, 0xbeb8f4ab, v115
	v_add_f32_e32 v82, v45, v82
	v_fmamk_f32 v83, v93, 0x3e3c28d5, v143
	v_mul_f32_e32 v144, 0xbe8c1d8e, v114
	v_fmamk_f32 v84, v105, 0x3f4c4adb, v160
	v_add_f32_e32 v81, v81, v80
	v_fmamk_f32 v145, v102, 0x3f6eb680, v136
	v_add_f32_e32 v82, v83, v82
	v_fmamk_f32 v83, v95, 0xbf763a35, v144
	v_mul_f32_e32 v147, 0x3f6eb680, v117
	v_mul_f32_e32 v161, 0xbf7ee86f, v106
	v_add_f32_e32 v80, v84, v79
	v_add_f32_e32 v79, v145, v81
	v_add_f32_e32 v81, v83, v82
	v_fmamk_f32 v82, v97, 0xbeb8f4ab, v147
	v_mul_f32_e32 v162, 0x3ee437d1, v116
	v_fmamk_f32 v83, v90, 0x3dbcf732, v161
	v_mul_f32_e32 v163, 0xbe3c28d5, v107
	v_mul_f32_e32 v164, 0xbf59a7d5, v118
	v_add_f32_e32 v81, v82, v81
	v_fmamk_f32 v82, v99, 0x3f65296c, v162
	v_add_f32_e32 v83, v44, v83
	v_fmamk_f32 v84, v92, 0xbf7ba420, v163
	v_mul_f32_e32 v165, 0x3f763a35, v108
	v_mul_f32_e32 v157, 0xbf1a4643, v120
	v_add_f32_e32 v81, v82, v81
	v_fmamk_f32 v82, v101, 0x3f06c442, v164
	v_add_f32_e32 v83, v84, v83
	v_fmamk_f32 v84, v94, 0xbe8c1d8e, v165
	v_mul_f32_e32 v166, 0x3eb8f4ab, v109
	v_mul_f32_e32 v156, 0xbf4c4adb, v119
	v_add_f32_e32 v81, v82, v81
	v_fmamk_f32 v82, v103, 0xbf4c4adb, v157
	v_add_f32_e32 v83, v84, v83
	v_fmamk_f32 v84, v96, 0x3f6eb680, v166
	v_mul_f32_e32 v167, 0xbf65296c, v111
	v_mul_f32_e32 v168, 0x3ee437d1, v110
	v_fmamk_f32 v145, v104, 0xbf1a4643, v156
	v_add_f32_e32 v81, v82, v81
	v_add_f32_e32 v82, v84, v83
	v_fmamk_f32 v83, v98, 0x3ee437d1, v167
	v_mul_f32_e32 v169, 0xbf06c442, v113
	v_mul_f32_e32 v170, 0x3f3d2fb0, v121
	v_fmamk_f32 v84, v91, 0x3f65296c, v168
	v_mul_f32_e32 v171, 0xbf1a4643, v112
	v_add_f32_e32 v79, v145, v79
	v_add_f32_e32 v82, v83, v82
	v_fmamk_f32 v83, v100, 0xbf59a7d5, v169
	v_mul_f32_e32 v172, 0x3f4c4adb, v115
	v_add_f32_e32 v84, v45, v84
	v_fmamk_f32 v146, v93, 0x3f4c4adb, v171
	v_mul_f32_e32 v145, 0xbf7ba420, v114
	v_fmamk_f32 v173, v105, 0xbf2c7751, v170
	v_add_f32_e32 v83, v83, v82
	v_fmamk_f32 v174, v102, 0xbf1a4643, v172
	v_add_f32_e32 v84, v146, v84
	v_fmamk_f32 v175, v95, 0xbe3c28d5, v145
	v_mul_f32_e32 v146, 0xbe8c1d8e, v117
	v_add_f32_e32 v82, v173, v81
	v_mul_f32_e32 v173, 0xbf65296c, v106
	v_add_f32_e32 v81, v174, v83
	v_add_f32_e32 v83, v175, v84
	v_fmamk_f32 v84, v97, 0xbf763a35, v146
	v_mul_f32_e32 v174, 0x3f3d2fb0, v116
	v_fmamk_f32 v176, v90, 0x3ee437d1, v173
	v_mul_f32_e32 v177, 0xbf4c4adb, v107
	v_mul_f32_e32 v178, 0x3f6eb680, v118
	v_add_f32_e32 v83, v84, v83
	v_fmamk_f32 v84, v99, 0xbf2c7751, v174
	v_add_f32_e32 v176, v44, v176
	v_fmamk_f32 v179, v92, 0xbf1a4643, v177
	v_mul_f32_e32 v180, 0x3e3c28d5, v108
	v_mul_f32_e32 v175, 0x3f2c7751, v119
	v_add_f32_e32 v83, v84, v83
	v_fmamk_f32 v84, v101, 0x3eb8f4ab, v178
	v_mul_f32_e32 v181, 0x3dbcf732, v120
	v_add_f32_e32 v176, v179, v176
	v_fmamk_f32 v179, v94, 0xbf7ba420, v180
	v_mul_f32_e32 v182, 0x3f763a35, v109
	v_fmamk_f32 v183, v104, 0x3f3d2fb0, v175
	v_add_f32_e32 v83, v84, v83
	v_fmamk_f32 v84, v103, 0x3f7ee86f, v181
	v_add_f32_e32 v176, v179, v176
	v_fmamk_f32 v179, v96, 0xbe8c1d8e, v182
	v_mul_f32_e32 v184, 0x3f2c7751, v111
	v_add_f32_e32 v81, v183, v81
	v_add_f32_e32 v83, v84, v83
	v_mul_f32_e32 v183, 0x3f3d2fb0, v110
	v_add_f32_e32 v84, v179, v176
	v_fmamk_f32 v176, v98, 0x3f3d2fb0, v184
	v_mul_f32_e32 v179, 0xbeb8f4ab, v113
	v_mul_f32_e32 v185, 0xbf59a7d5, v121
	v_fmamk_f32 v186, v91, 0x3f2c7751, v183
	v_mul_f32_e32 v187, 0x3dbcf732, v112
	v_add_f32_e32 v84, v176, v84
	v_fmamk_f32 v176, v100, 0x3f6eb680, v179
	v_mul_f32_e32 v188, 0xbf7ee86f, v115
	v_add_f32_e32 v186, v45, v186
	v_fmamk_f32 v189, v93, 0x3f7ee86f, v187
	v_mul_f32_e32 v190, 0xbf1a4643, v114
	v_fmamk_f32 v191, v105, 0x3f06c442, v185
	v_add_f32_e32 v176, v176, v84
	v_fmamk_f32 v192, v102, 0x3dbcf732, v188
	v_add_f32_e32 v186, v189, v186
	v_fmamk_f32 v189, v95, 0x3f4c4adb, v190
	v_mul_f32_e32 v193, 0xbf7ba420, v117
	v_add_f32_e32 v84, v191, v83
	v_add_f32_e32 v83, v192, v176
	v_mul_f32_e32 v176, 0xbf2c7751, v106
	v_add_f32_e32 v186, v189, v186
	v_fmamk_f32 v189, v97, 0x3e3c28d5, v193
	v_mul_f32_e32 v191, 0xbf59a7d5, v116
	v_mul_f32_e32 v195, 0xbf7ee86f, v107
	v_fmamk_f32 v194, v90, 0x3f3d2fb0, v176
	v_mul_f32_e32 v196, 0xbe8c1d8e, v118
	v_add_f32_e32 v186, v189, v186
	v_fmamk_f32 v189, v99, 0xbf06c442, v191
	v_fmamk_f32 v197, v92, 0x3dbcf732, v195
	v_add_f32_e32 v194, v44, v194
	v_mul_f32_e32 v198, 0xbf4c4adb, v108
	v_mul_f32_e32 v199, 0x3ee437d1, v120
	v_add_f32_e32 v186, v189, v186
	v_fmamk_f32 v189, v101, 0xbf763a35, v196
	v_add_f32_e32 v194, v197, v194
	v_fmamk_f32 v197, v94, 0xbf1a4643, v198
	v_mul_f32_e32 v200, 0xbe3c28d5, v109
	v_mul_f32_e32 v192, 0xbf06c442, v119
	v_add_f32_e32 v186, v189, v186
	v_fmamk_f32 v189, v103, 0xbf65296c, v199
	v_add_f32_e32 v194, v197, v194
	v_fmamk_f32 v197, v96, 0xbf7ba420, v200
	v_mul_f32_e32 v202, 0x3f06c442, v111
	v_mul_f32_e32 v110, 0x3f6eb680, v110
	v_fmamk_f32 v201, v104, 0xbf59a7d5, v192
	v_add_f32_e32 v186, v189, v186
	v_add_f32_e32 v189, v197, v194
	v_fmamk_f32 v194, v98, 0xbf59a7d5, v202
	v_mul_f32_e32 v197, 0x3f763a35, v113
	v_fmamk_f32 v203, v91, 0x3eb8f4ab, v110
	v_mul_f32_e32 v112, 0x3f3d2fb0, v112
	v_add_f32_e32 v47, v47, v45
	v_add_f32_e32 v83, v201, v83
	v_mul_f32_e32 v201, 0x3f6eb680, v121
	v_add_f32_e32 v189, v194, v189
	v_fmamk_f32 v194, v100, 0xbe8c1d8e, v197
	v_mul_f32_e32 v204, 0x3f65296c, v115
	v_add_f32_e32 v203, v45, v203
	v_fmamk_f32 v205, v93, 0x3f2c7751, v112
	v_mul_f32_e32 v114, 0x3ee437d1, v114
	v_add_f32_e32 v47, v53, v47
	v_add_f32_e32 v46, v46, v44
	v_fmamk_f32 v206, v105, 0xbeb8f4ab, v201
	v_add_f32_e32 v189, v194, v189
	v_fmamk_f32 v194, v102, 0x3ee437d1, v204
	v_add_f32_e32 v203, v205, v203
	v_fmamk_f32 v205, v95, 0x3f65296c, v114
	v_mul_f32_e32 v207, 0x3dbcf732, v117
	v_add_f32_e32 v47, v55, v47
	v_add_f32_e32 v46, v52, v46
	;; [unrolled: 1-line block ×5, first 2 shown]
	v_fmamk_f32 v194, v97, 0x3f7ee86f, v207
	v_mul_f32_e32 v203, 0xbe8c1d8e, v116
	v_add_f32_e32 v47, v49, v47
	v_add_f32_e32 v46, v54, v46
	v_mul_f32_e32 v52, 0xbf1a4643, v118
	v_add_f32_e32 v116, v194, v189
	v_fmamk_f32 v189, v99, 0x3f763a35, v203
	v_add_f32_e32 v47, v51, v47
	v_add_f32_e32 v46, v48, v46
	v_mul_f32_e32 v53, 0x3eb8f4ab, v119
	v_fmamk_f32 v49, v101, 0x3f4c4adb, v52
	v_add_f32_e32 v118, v189, v116
	v_mul_f32_e32 v54, 0xbeb8f4ab, v106
	v_add_f32_e32 v47, v65, v47
	v_add_f32_e32 v46, v50, v46
	v_fmamk_f32 v55, v104, 0x3f6eb680, v53
	v_add_f32_e32 v48, v49, v118
	v_fmamk_f32 v49, v90, 0x3f6eb680, v54
	v_mul_f32_e32 v51, 0xbf2c7751, v107
	v_add_f32_e32 v47, v67, v47
	v_add_f32_e32 v46, v64, v46
	;; [unrolled: 1-line block ×4, first 2 shown]
	v_fmamk_f32 v55, v92, 0x3f3d2fb0, v51
	v_mul_f32_e32 v64, 0xbf65296c, v108
	v_add_f32_e32 v47, v57, v47
	v_add_f32_e32 v46, v66, v46
	v_mul_f32_e32 v57, 0xbf7ee86f, v109
	v_add_f32_e32 v49, v55, v49
	v_fmamk_f32 v55, v94, 0x3ee437d1, v64
	v_add_f32_e32 v47, v59, v47
	v_add_f32_e32 v46, v56, v46
	v_mul_f32_e32 v50, 0xbf59a7d5, v120
	v_mul_f32_e32 v56, 0xbf763a35, v111
	v_add_f32_e32 v49, v55, v49
	v_fmamk_f32 v55, v96, 0x3dbcf732, v57
	v_add_f32_e32 v9, v9, v47
	v_add_f32_e32 v46, v58, v46
	v_fmamk_f32 v65, v103, 0x3f06c442, v50
	v_mul_f32_e32 v47, 0xbf7ba420, v121
	v_add_f32_e32 v49, v55, v49
	v_fmamk_f32 v55, v98, 0xbe8c1d8e, v56
	v_add_f32_e32 v9, v11, v9
	v_add_f32_e32 v8, v8, v46
	v_mul_f32_e32 v46, 0xbf4c4adb, v113
	v_add_f32_e32 v48, v65, v48
	v_fmamk_f32 v11, v105, 0x3e3c28d5, v47
	v_add_f32_e32 v49, v55, v49
	v_add_f32_e32 v9, v5, v9
	;; [unrolled: 1-line block ×3, first 2 shown]
	v_fmamk_f32 v10, v100, 0xbf1a4643, v46
	v_mul_f32_e32 v55, 0xbf06c442, v115
	v_add_f32_e32 v5, v11, v48
	v_add_f32_e32 v7, v7, v9
	v_add_f32_e32 v4, v4, v8
	v_add_f32_e32 v8, v10, v49
	v_fmamk_f32 v9, v102, 0xbf59a7d5, v55
	v_mul_f32_e32 v48, 0xbe3c28d5, v119
	v_add_f32_e32 v1, v1, v7
	v_add_f32_e32 v4, v6, v4
	v_fmac_f32_e32 v128, 0xbf4c4adb, v91
	v_add_f32_e32 v6, v9, v8
	v_fmamk_f32 v7, v104, 0xbf7ba420, v48
	v_add_f32_e32 v1, v3, v1
	v_add_f32_e32 v0, v0, v4
	;; [unrolled: 1-line block ×3, first 2 shown]
	v_fmac_f32_e32 v124, 0x3f763a35, v93
	v_add_f32_e32 v4, v7, v6
	v_fma_f32 v6, 0xbf1a4643, v90, -v139
	v_add_f32_e32 v0, v2, v0
	v_fmac_f32_e32 v122, 0xbeb8f4ab, v95
	v_add_f32_e32 v2, v124, v3
	v_fmac_f32_e32 v150, 0xbf763a35, v91
	v_add_f32_e32 v3, v44, v6
	v_fma_f32 v6, 0xbe8c1d8e, v92, -v140
	v_fmac_f32_e32 v123, 0xbf06c442, v97
	v_add_f32_e32 v2, v122, v2
	v_add_f32_e32 v7, v45, v150
	v_fmac_f32_e32 v151, 0x3f06c442, v93
	v_add_f32_e32 v3, v6, v3
	v_fma_f32 v6, 0x3f6eb680, v94, -v131
	v_add_f32_e32 v2, v123, v2
	v_fmac_f32_e32 v125, 0x3f7ee86f, v99
	v_add_f32_e32 v7, v151, v7
	v_fmac_f32_e32 v152, 0x3f2c7751, v95
	v_add_f32_e32 v3, v6, v3
	v_fma_f32 v6, 0xbf59a7d5, v96, -v132
	v_add_f32_e32 v2, v125, v2
	v_fmac_f32_e32 v126, 0xbf2c7751, v101
	;; [unrolled: 6-line block ×4, first 2 shown]
	v_fma_f32 v8, 0xbf7ba420, v102, -v138
	v_add_f32_e32 v7, v158, v7
	v_add_f32_e32 v6, v6, v3
	v_fmac_f32_e32 v155, 0x3f7ee86f, v101
	v_add_f32_e32 v3, v134, v2
	v_fma_f32 v2, 0xbe8c1d8e, v90, -v148
	v_fmac_f32_e32 v142, 0xbeb8f4ab, v103
	v_add_f32_e32 v6, v8, v6
	v_fma_f32 v8, 0x3ee437d1, v104, -v154
	v_add_f32_e32 v7, v155, v7
	v_add_f32_e32 v9, v44, v2
	v_fma_f32 v10, 0xbf59a7d5, v92, -v149
	v_fmac_f32_e32 v159, 0xbf7ee86f, v91
	v_add_f32_e32 v2, v8, v6
	v_add_f32_e32 v6, v142, v7
	v_fmac_f32_e32 v160, 0xbf4c4adb, v105
	v_add_f32_e32 v8, v10, v9
	v_fma_f32 v9, 0x3f3d2fb0, v94, -v141
	v_add_f32_e32 v10, v45, v159
	v_fmac_f32_e32 v143, 0xbe3c28d5, v93
	v_add_f32_e32 v7, v160, v6
	v_fma_f32 v6, 0x3dbcf732, v90, -v161
	v_add_f32_e32 v8, v9, v8
	v_fma_f32 v9, 0x3ee437d1, v96, -v129
	v_add_f32_e32 v10, v143, v10
	v_fmac_f32_e32 v144, 0x3f763a35, v95
	v_add_f32_e32 v6, v44, v6
	v_fma_f32 v11, 0xbf7ba420, v92, -v163
	;; [unrolled: 6-line block ×6, first 2 shown]
	v_fmac_f32_e32 v168, 0xbf65296c, v91
	v_add_f32_e32 v6, v9, v8
	v_add_f32_e32 v8, v157, v10
	v_fmac_f32_e32 v170, 0x3f2c7751, v105
	v_add_f32_e32 v10, v49, v11
	v_fma_f32 v11, 0xbf1a4643, v102, -v172
	v_add_f32_e32 v49, v45, v168
	v_fmac_f32_e32 v171, 0xbf4c4adb, v93
	v_add_f32_e32 v9, v170, v8
	v_fma_f32 v8, 0x3ee437d1, v90, -v173
	v_add_f32_e32 v10, v11, v10
	v_fma_f32 v11, 0x3f3d2fb0, v104, -v175
	v_add_f32_e32 v49, v171, v49
	v_fmac_f32_e32 v145, 0x3e3c28d5, v95
	v_add_f32_e32 v58, v44, v8
	v_fma_f32 v59, 0xbf1a4643, v92, -v177
	v_add_f32_e32 v8, v11, v10
	v_fmac_f32_e32 v183, 0xbf2c7751, v91
	v_add_f32_e32 v10, v145, v49
	v_fmac_f32_e32 v146, 0x3f763a35, v97
	v_add_f32_e32 v11, v59, v58
	v_fma_f32 v49, 0xbf7ba420, v94, -v180
	v_add_f32_e32 v58, v45, v183
	v_fmac_f32_e32 v187, 0xbf7ee86f, v93
	;; [unrolled: 6-line block ×6, first 2 shown]
	v_add_f32_e32 v11, v185, v10
	v_fma_f32 v10, 0x3f3d2fb0, v90, -v176
	v_fmac_f32_e32 v110, 0xbeb8f4ab, v91
	v_fma_f32 v54, 0x3f6eb680, v90, -v54
	v_add_f32_e32 v49, v59, v49
	v_fma_f32 v59, 0xbf59a7d5, v104, -v192
	v_add_f32_e32 v58, v196, v58
	v_fmac_f32_e32 v199, 0x3f65296c, v103
	v_add_f32_e32 v65, v44, v10
	v_fma_f32 v66, 0x3dbcf732, v92, -v195
	v_add_f32_e32 v45, v45, v110
	v_fmac_f32_e32 v112, 0xbf2c7751, v93
	v_add_f32_e32 v44, v44, v54
	v_fma_f32 v51, 0x3f3d2fb0, v92, -v51
	v_add_f32_e32 v10, v59, v49
	v_add_f32_e32 v49, v199, v58
	;; [unrolled: 1-line block ×3, first 2 shown]
	v_fma_f32 v59, 0xbf1a4643, v94, -v198
	v_add_f32_e32 v45, v112, v45
	v_fmac_f32_e32 v114, 0xbf65296c, v95
	v_add_f32_e32 v44, v51, v44
	v_fma_f32 v51, 0x3ee437d1, v94, -v64
	v_add_f32_e32 v54, v59, v58
	v_fma_f32 v58, 0xbf7ba420, v96, -v200
	v_add_f32_e32 v45, v114, v45
	v_fmac_f32_e32 v207, 0xbf7ee86f, v97
	v_add_f32_e32 v44, v51, v44
	v_fma_f32 v51, 0x3dbcf732, v96, -v57
	v_add_f32_e32 v54, v58, v54
	;; [unrolled: 6-line block ×4, first 2 shown]
	v_fma_f32 v56, 0x3ee437d1, v102, -v204
	v_add_f32_e32 v45, v52, v45
	v_fmac_f32_e32 v50, 0xbf06c442, v103
	v_add_f32_e32 v44, v46, v44
	v_fma_f32 v46, 0xbf59a7d5, v102, -v55
	v_fma_f32 v52, 0x3f6eb680, v104, -v53
	v_mov_b32_e32 v53, 3
	v_add_f32_e32 v1, v70, v1
	v_add_f32_e32 v0, v69, v0
	v_fmac_f32_e32 v201, 0x3eb8f4ab, v105
	v_add_f32_e32 v51, v56, v54
	v_add_f32_e32 v50, v50, v45
	v_fmac_f32_e32 v47, 0xbe3c28d5, v105
	v_add_f32_e32 v46, v46, v44
	v_fma_f32 v48, 0xbf7ba420, v104, -v48
	v_lshlrev_b32_sdwa v53, v53, v88 dst_sel:DWORD dst_unused:UNUSED_PAD src0_sel:DWORD src1_sel:WORD_0
	v_add_f32_e32 v45, v201, v49
	v_add_f32_e32 v44, v52, v51
	;; [unrolled: 1-line block ×4, first 2 shown]
	ds_write2_b64 v53, v[0:1], v[4:5] offset1:1
	ds_write2_b64 v53, v[116:117], v[83:84] offset0:2 offset1:3
	ds_write2_b64 v53, v[81:82], v[79:80] offset0:4 offset1:5
	ds_write2_b64 v53, v[77:78], v[75:76] offset0:6 offset1:7
	ds_write2_b64 v53, v[60:61], v[62:63] offset0:8 offset1:9
	ds_write2_b64 v53, v[73:74], v[2:3] offset0:10 offset1:11
	ds_write2_b64 v53, v[6:7], v[8:9] offset0:12 offset1:13
	ds_write2_b64 v53, v[10:11], v[44:45] offset0:14 offset1:15
	ds_write_b64 v53, v[46:47] offset:128
.LBB0_17:
	s_or_b32 exec_lo, exec_lo, s1
	s_waitcnt lgkmcnt(0)
	s_barrier
	buffer_gl0_inv
	ds_read2_b64 v[0:3], v86 offset1:187
	v_add_nc_u32_e32 v4, 0xa00, v86
	v_add_nc_u32_e32 v8, 0x1600, v86
	;; [unrolled: 1-line block ×3, first 2 shown]
	ds_read2_b64 v[4:7], v4 offset0:54 offset1:241
	ds_read2_b64 v[8:11], v8 offset0:44 offset1:231
	;; [unrolled: 1-line block ×3, first 2 shown]
	s_waitcnt lgkmcnt(0)
	s_barrier
	buffer_gl0_inv
	v_mul_f32_e32 v48, v25, v3
	v_mul_f32_e32 v25, v25, v2
	v_fmac_f32_e32 v48, v24, v2
	v_fma_f32 v2, v24, v3, -v25
	v_mul_f32_e32 v3, v27, v5
	v_mul_f32_e32 v24, v27, v4
	;; [unrolled: 1-line block ×12, first 2 shown]
	v_fmac_f32_e32 v3, v26, v4
	v_fmac_f32_e32 v27, v18, v8
	;; [unrolled: 1-line block ×3, first 2 shown]
	v_fma_f32 v4, v26, v5, -v24
	v_fmac_f32_e32 v25, v16, v6
	v_fma_f32 v5, v16, v7, -v17
	v_fma_f32 v6, v18, v9, -v19
	v_fmac_f32_e32 v49, v12, v10
	v_fma_f32 v7, v12, v11, -v13
	v_sub_f32_e32 v8, v0, v27
	v_fma_f32 v9, v14, v45, -v15
	v_fmac_f32_e32 v51, v71, v46
	v_fma_f32 v10, v71, v47, -v52
	v_sub_f32_e32 v11, v3, v50
	v_sub_f32_e32 v6, v1, v6
	v_fma_f32 v0, v0, 2.0, -v8
	v_sub_f32_e32 v9, v4, v9
	v_sub_f32_e32 v12, v48, v49
	;; [unrolled: 1-line block ×3, first 2 shown]
	v_fma_f32 v3, v3, 2.0, -v11
	v_sub_f32_e32 v14, v25, v51
	v_sub_f32_e32 v10, v5, v10
	v_fma_f32 v1, v1, 2.0, -v6
	v_fma_f32 v4, v4, 2.0, -v9
	v_sub_f32_e32 v15, v0, v3
	v_fma_f32 v3, v25, 2.0, -v14
	v_add_f32_e32 v17, v8, v9
	v_sub_f32_e32 v18, v6, v11
	v_add_f32_e32 v19, v12, v10
	v_sub_f32_e32 v14, v7, v14
	v_fma_f32 v13, v48, 2.0, -v12
	v_fma_f32 v2, v2, 2.0, -v7
	v_sub_f32_e32 v16, v1, v4
	v_fma_f32 v4, v5, 2.0, -v10
	v_fma_f32 v8, v8, 2.0, -v17
	;; [unrolled: 1-line block ×5, first 2 shown]
	v_sub_f32_e32 v3, v13, v3
	v_sub_f32_e32 v9, v2, v4
	v_fma_f32 v0, v0, 2.0, -v15
	v_fmamk_f32 v6, v10, 0xbf3504f3, v8
	v_fmamk_f32 v7, v11, 0xbf3504f3, v24
	v_fma_f32 v1, v1, 2.0, -v16
	v_fma_f32 v4, v13, 2.0, -v3
	;; [unrolled: 1-line block ×3, first 2 shown]
	v_fmac_f32_e32 v6, 0x3f3504f3, v11
	v_fmac_f32_e32 v7, 0xbf3504f3, v10
	v_fmamk_f32 v10, v19, 0x3f3504f3, v17
	v_fmamk_f32 v11, v14, 0x3f3504f3, v18
	v_sub_f32_e32 v4, v0, v4
	v_sub_f32_e32 v5, v1, v2
	v_fma_f32 v2, v8, 2.0, -v6
	v_add_f32_e32 v8, v15, v9
	v_sub_f32_e32 v9, v16, v3
	v_fmac_f32_e32 v10, 0x3f3504f3, v14
	v_fmac_f32_e32 v11, 0xbf3504f3, v19
	v_fma_f32 v0, v0, 2.0, -v4
	v_fma_f32 v1, v1, 2.0, -v5
	;; [unrolled: 1-line block ×7, first 2 shown]
	ds_write2_b64 v89, v[0:1], v[2:3] offset1:17
	ds_write2_b64 v89, v[12:13], v[14:15] offset0:34 offset1:51
	ds_write2_b64 v89, v[4:5], v[6:7] offset0:68 offset1:85
	;; [unrolled: 1-line block ×3, first 2 shown]
	s_waitcnt lgkmcnt(0)
	s_barrier
	buffer_gl0_inv
	s_and_saveexec_b32 s1, s0
	s_cbranch_execz .LBB0_19
; %bb.18:
	v_add_nc_u32_e32 v4, 0x800, v86
	v_add_nc_u32_e32 v5, 0x1000, v86
	;; [unrolled: 1-line block ×4, first 2 shown]
	ds_read2_b64 v[0:3], v86 offset1:136
	ds_read2_b64 v[12:15], v4 offset0:16 offset1:152
	ds_read2_b64 v[4:7], v5 offset0:32 offset1:168
	ds_read2_b64 v[8:11], v8 offset0:48 offset1:184
	ds_read2_b64 v[60:63], v16 offset0:64 offset1:200
	ds_read_b64 v[73:74], v86 offset:10880
.LBB0_19:
	s_or_b32 exec_lo, exec_lo, s1
	s_and_saveexec_b32 s1, s0
	s_cbranch_execz .LBB0_21
; %bb.20:
	s_waitcnt lgkmcnt(5)
	v_mul_f32_e32 v17, v37, v3
	s_waitcnt lgkmcnt(0)
	v_mul_f32_e32 v16, v43, v74
	v_mul_f32_e32 v18, v43, v73
	;; [unrolled: 1-line block ×4, first 2 shown]
	v_fmac_f32_e32 v17, v36, v2
	v_fmac_f32_e32 v16, v42, v73
	v_mul_f32_e32 v25, v41, v63
	v_fma_f32 v26, v42, v74, -v18
	v_mul_f32_e32 v18, v41, v62
	v_fma_f32 v19, v36, v3, -v19
	v_sub_f32_e32 v3, v17, v16
	v_fmac_f32_e32 v24, v38, v12
	v_fmac_f32_e32 v25, v40, v62
	v_mul_f32_e32 v12, v39, v12
	v_fma_f32 v37, v40, v63, -v18
	v_mul_f32_e32 v40, v29, v15
	v_mul_f32_e32 v41, v35, v61
	v_mul_f32_e32 v27, 0xbf7d64f0, v3
	v_add_f32_e32 v36, v26, v19
	v_sub_f32_e32 v2, v24, v25
	v_fma_f32 v38, v38, v13, -v12
	v_fmac_f32_e32 v40, v28, v14
	v_fmac_f32_e32 v41, v34, v60
	v_mul_f32_e32 v35, v35, v60
	v_mul_f32_e32 v14, v29, v14
	v_mul_f32_e32 v29, v31, v5
	v_mul_f32_e32 v42, v33, v11
	v_fmamk_f32 v12, v36, 0xbe11bafb, v27
	v_mul_f32_e32 v13, 0x3e903f40, v2
	v_add_f32_e32 v39, v37, v38
	v_sub_f32_e32 v43, v40, v41
	v_fma_f32 v34, v34, v61, -v35
	v_fma_f32 v28, v28, v15, -v14
	v_fmac_f32_e32 v29, v30, v4
	v_fmac_f32_e32 v42, v32, v10
	v_mul_f32_e32 v10, v33, v10
	v_mul_f32_e32 v4, v31, v4
	v_add_f32_e32 v12, v1, v12
	v_fmamk_f32 v18, v39, 0xbf75a155, v13
	v_mul_f32_e32 v14, 0x3f68dda4, v43
	v_add_f32_e32 v31, v34, v28
	v_sub_f32_e32 v33, v29, v42
	v_fma_f32 v32, v32, v11, -v10
	v_fma_f32 v30, v30, v5, -v4
	v_add_f32_e32 v4, v18, v12
	v_fmamk_f32 v5, v31, 0x3ed4b147, v14
	v_mul_f32_e32 v12, 0xbf0a6770, v33
	v_mul_f32_e32 v44, v21, v7
	v_add_f32_e32 v35, v32, v30
	v_mul_f32_e32 v45, v23, v9
	v_add_f32_e32 v4, v5, v4
	v_sub_f32_e32 v46, v19, v26
	v_fmac_f32_e32 v44, v20, v6
	v_fmamk_f32 v5, v35, 0x3f575c64, v12
	v_fmac_f32_e32 v45, v22, v8
	v_mul_f32_e32 v6, v21, v6
	v_add_f32_e32 v21, v16, v17
	v_mul_f32_e32 v15, 0xbf7d64f0, v46
	v_add_f32_e32 v4, v5, v4
	v_mul_f32_e32 v5, v23, v8
	v_sub_f32_e32 v47, v38, v37
	v_sub_f32_e32 v23, v44, v45
	v_fma_f32 v20, v20, v7, -v6
	v_add_f32_e32 v48, v25, v24
	v_fma_f32 v22, v22, v9, -v5
	v_fma_f32 v5, 0xbe11bafb, v21, -v15
	v_mul_f32_e32 v18, 0x3e903f40, v47
	v_sub_f32_e32 v50, v28, v34
	v_mul_f32_e32 v49, 0xbf4178ce, v23
	v_add_f32_e32 v51, v22, v20
	v_add_f32_e32 v5, v0, v5
	v_fma_f32 v6, 0xbf75a155, v48, -v18
	v_add_f32_e32 v52, v41, v40
	v_mul_f32_e32 v53, 0x3f68dda4, v50
	v_sub_f32_e32 v54, v30, v32
	v_fmamk_f32 v7, v51, 0xbf27a4f4, v49
	v_add_f32_e32 v6, v6, v5
	v_mul_f32_e32 v10, 0xbf4178ce, v3
	v_fma_f32 v8, 0x3ed4b147, v52, -v53
	v_add_f32_e32 v55, v42, v29
	v_mul_f32_e32 v56, 0xbf0a6770, v54
	v_sub_f32_e32 v57, v20, v22
	v_add_f32_e32 v5, v7, v4
	v_add_f32_e32 v4, v8, v6
	v_fmamk_f32 v6, v36, 0xbf27a4f4, v10
	v_mul_f32_e32 v11, 0x3f7d64f0, v2
	v_fma_f32 v7, 0x3f575c64, v55, -v56
	v_add_f32_e32 v58, v45, v44
	v_mul_f32_e32 v59, 0xbf4178ce, v57
	v_add_f32_e32 v6, v1, v6
	v_fmamk_f32 v8, v39, 0xbe11bafb, v11
	v_mul_f32_e32 v60, 0xbf0a6770, v43
	v_add_f32_e32 v4, v7, v4
	v_fma_f32 v7, 0xbf27a4f4, v58, -v59
	v_mul_f32_e32 v61, 0xbf4178ce, v46
	v_add_f32_e32 v6, v8, v6
	v_fmamk_f32 v8, v31, 0x3f575c64, v60
	v_mul_f32_e32 v62, 0xbe903f40, v33
	v_add_f32_e32 v4, v7, v4
	v_fma_f32 v7, 0xbf27a4f4, v21, -v61
	v_mul_f32_e32 v63, 0x3f7d64f0, v47
	v_fma_f32 v10, 0xbf27a4f4, v36, -v10
	v_add_f32_e32 v6, v8, v6
	v_fmamk_f32 v8, v35, 0xbf75a155, v62
	v_mul_f32_e32 v64, 0x3f68dda4, v23
	v_add_f32_e32 v7, v0, v7
	v_fma_f32 v9, 0xbe11bafb, v48, -v63
	v_mul_f32_e32 v65, 0xbf0a6770, v50
	v_add_f32_e32 v10, v1, v10
	v_fma_f32 v11, 0xbe11bafb, v39, -v11
	v_fmac_f32_e32 v61, 0xbf27a4f4, v21
	v_add_f32_e32 v6, v8, v6
	v_fmamk_f32 v8, v51, 0x3ed4b147, v64
	v_mul_f32_e32 v66, 0xbe903f40, v3
	v_add_f32_e32 v9, v9, v7
	v_fma_f32 v67, 0x3f575c64, v52, -v65
	v_mul_f32_e32 v69, 0xbe903f40, v54
	v_add_f32_e32 v10, v11, v10
	v_fma_f32 v60, 0x3f575c64, v31, -v60
	v_add_f32_e32 v61, v0, v61
	v_fmac_f32_e32 v63, 0xbe11bafb, v48
	v_fma_f32 v27, 0xbe11bafb, v36, -v27
	v_add_f32_e32 v7, v8, v6
	v_fmamk_f32 v6, v36, 0xbf75a155, v66
	v_mul_f32_e32 v8, 0x3f0a6770, v2
	v_add_f32_e32 v9, v67, v9
	v_fma_f32 v67, 0xbf75a155, v55, -v69
	v_mul_f32_e32 v70, 0x3f68dda4, v57
	v_add_f32_e32 v10, v60, v10
	v_fma_f32 v60, 0xbf75a155, v35, -v62
	v_add_f32_e32 v61, v63, v61
	v_fmac_f32_e32 v65, 0x3f575c64, v52
	v_add_f32_e32 v27, v1, v27
	v_fma_f32 v13, 0xbf75a155, v39, -v13
	v_add_f32_e32 v6, v1, v6
	v_fmamk_f32 v71, v39, 0x3f575c64, v8
	v_mul_f32_e32 v72, 0xbf4178ce, v43
	v_add_f32_e32 v9, v67, v9
	v_fma_f32 v67, 0x3ed4b147, v58, -v70
	v_mul_f32_e32 v73, 0xbe903f40, v46
	v_add_f32_e32 v60, v60, v10
	v_fma_f32 v62, 0x3ed4b147, v51, -v64
	v_add_f32_e32 v61, v65, v61
	v_fmac_f32_e32 v69, 0xbf75a155, v55
	v_add_f32_e32 v27, v13, v27
	v_fma_f32 v14, 0x3ed4b147, v31, -v14
	v_add_f32_e32 v71, v71, v6
	v_fmamk_f32 v74, v31, 0xbf27a4f4, v72
	v_mul_f32_e32 v75, 0x3f68dda4, v33
	v_add_f32_e32 v6, v67, v9
	v_fma_f32 v9, 0xbf75a155, v21, -v73
	v_mul_f32_e32 v67, 0x3f0a6770, v47
	v_add_f32_e32 v13, v62, v60
	v_add_f32_e32 v60, v69, v61
	v_fmac_f32_e32 v15, 0xbe11bafb, v21
	v_fmac_f32_e32 v70, 0x3ed4b147, v58
	v_add_f32_e32 v14, v14, v27
	v_fma_f32 v27, 0x3f575c64, v35, -v12
	v_mul_f32_e32 v61, 0x3ed4b147, v36
	v_add_f32_e32 v71, v74, v71
	v_fmamk_f32 v74, v35, 0x3ed4b147, v75
	v_mul_f32_e32 v76, 0xbf7d64f0, v23
	v_add_f32_e32 v9, v0, v9
	v_fma_f32 v77, 0x3f575c64, v48, -v67
	v_mul_f32_e32 v78, 0xbf4178ce, v50
	v_fma_f32 v66, 0xbf75a155, v36, -v66
	v_add_f32_e32 v15, v0, v15
	v_fmac_f32_e32 v18, 0xbf75a155, v48
	v_add_f32_e32 v12, v70, v60
	v_add_f32_e32 v14, v27, v14
	v_fmamk_f32 v27, v3, 0x3f68dda4, v61
	v_mul_f32_e32 v60, 0xbf27a4f4, v39
	v_add_f32_e32 v71, v74, v71
	v_fmamk_f32 v74, v51, 0xbe11bafb, v76
	v_add_f32_e32 v77, v77, v9
	v_fma_f32 v79, 0xbf27a4f4, v52, -v78
	v_mul_f32_e32 v80, 0x3f68dda4, v54
	v_add_f32_e32 v66, v1, v66
	v_fma_f32 v8, 0x3f575c64, v39, -v8
	v_fmac_f32_e32 v73, 0xbf75a155, v21
	v_add_f32_e32 v15, v18, v15
	v_fmac_f32_e32 v53, 0x3ed4b147, v52
	v_fma_f32 v18, 0xbf27a4f4, v51, -v49
	v_add_f32_e32 v27, v1, v27
	v_fmamk_f32 v49, v2, 0x3f4178ce, v60
	v_mul_f32_e32 v62, 0xbf75a155, v31
	v_add_f32_e32 v9, v74, v71
	v_add_f32_e32 v71, v79, v77
	v_fma_f32 v74, 0x3ed4b147, v55, -v80
	v_mul_f32_e32 v77, 0xbf7d64f0, v57
	v_add_f32_e32 v8, v8, v66
	v_fma_f32 v66, 0xbf27a4f4, v31, -v72
	v_add_f32_e32 v73, v0, v73
	v_fmac_f32_e32 v67, 0x3f575c64, v48
	v_add_f32_e32 v53, v53, v15
	v_fmac_f32_e32 v56, 0x3f575c64, v55
	v_add_f32_e32 v15, v18, v14
	v_add_f32_e32 v14, v49, v27
	v_fmamk_f32 v18, v43, 0xbe903f40, v62
	v_mul_f32_e32 v27, 0xbe11bafb, v35
	v_add_f32_e32 v71, v74, v71
	v_fma_f32 v72, 0xbe11bafb, v58, -v77
	v_add_f32_e32 v66, v66, v8
	v_fma_f32 v74, 0x3ed4b147, v35, -v75
	v_add_f32_e32 v67, v67, v73
	v_fmac_f32_e32 v78, 0xbf27a4f4, v52
	v_add_f32_e32 v49, v56, v53
	v_fmac_f32_e32 v59, 0xbf27a4f4, v58
	v_mul_f32_e32 v53, 0xbf68dda4, v46
	v_add_f32_e32 v18, v18, v14
	v_fmamk_f32 v56, v33, 0xbf7d64f0, v27
	v_mul_f32_e32 v63, 0x3f575c64, v51
	v_add_f32_e32 v8, v72, v71
	v_add_f32_e32 v66, v74, v66
	v_fma_f32 v71, 0xbe11bafb, v51, -v76
	v_add_f32_e32 v67, v78, v67
	v_fmac_f32_e32 v80, 0x3ed4b147, v55
	v_add_f32_e32 v14, v59, v49
	v_fmamk_f32 v49, v21, 0x3ed4b147, v53
	v_mul_f32_e32 v59, 0xbf4178ce, v47
	v_add_f32_e32 v18, v56, v18
	v_fmamk_f32 v56, v23, 0xbf0a6770, v63
	v_mul_f32_e32 v36, 0x3f575c64, v36
	v_add_f32_e32 v11, v71, v66
	v_add_f32_e32 v66, v80, v67
	v_fmac_f32_e32 v77, 0xbe11bafb, v58
	v_add_f32_e32 v49, v0, v49
	v_fmamk_f32 v64, v48, 0xbf27a4f4, v59
	v_mul_f32_e32 v65, 0x3e903f40, v50
	v_add_f32_e32 v18, v56, v18
	v_fmamk_f32 v56, v3, 0x3f0a6770, v36
	v_mul_f32_e32 v39, 0x3ed4b147, v39
	v_add_f32_e32 v10, v77, v66
	v_add_f32_e32 v49, v64, v49
	v_fmamk_f32 v64, v52, 0xbf75a155, v65
	v_mul_f32_e32 v66, 0x3f7d64f0, v54
	v_add_f32_e32 v56, v1, v56
	v_fmamk_f32 v67, v2, 0x3f68dda4, v39
	v_mul_f32_e32 v31, 0xbe11bafb, v31
	v_add_f32_e32 v19, v19, v1
	;; [unrolled: 7-line block ×3, first 2 shown]
	v_add_f32_e32 v38, v0, v17
	v_add_f32_e32 v49, v64, v49
	v_fmamk_f32 v64, v58, 0x3f575c64, v69
	v_add_f32_e32 v56, v67, v56
	v_fmamk_f32 v67, v33, 0x3f4178ce, v35
	v_mul_f32_e32 v46, 0xbf0a6770, v46
	v_add_f32_e32 v19, v28, v19
	v_add_f32_e32 v24, v24, v38
	;; [unrolled: 1-line block ×4, first 2 shown]
	v_fmamk_f32 v56, v21, 0x3f575c64, v46
	v_mul_f32_e32 v28, 0xbf68dda4, v47
	v_add_f32_e32 v19, v30, v19
	v_add_f32_e32 v24, v40, v24
	v_mul_f32_e32 v40, 0xbf7d64f0, v50
	v_add_f32_e32 v47, v0, v56
	v_fmamk_f32 v30, v48, 0x3ed4b147, v28
	v_add_f32_e32 v19, v20, v19
	v_add_f32_e32 v24, v29, v24
	v_fmac_f32_e32 v61, 0xbf68dda4, v3
	v_fmac_f32_e32 v36, 0xbf0a6770, v3
	v_add_f32_e32 v29, v30, v47
	v_fmamk_f32 v30, v52, 0xbe11bafb, v40
	v_add_f32_e32 v19, v22, v19
	v_add_f32_e32 v22, v44, v24
	v_mul_f32_e32 v44, 0xbe903f40, v57
	v_fma_f32 v3, 0x3f575c64, v21, -v46
	v_add_f32_e32 v24, v30, v29
	v_mul_f32_e32 v29, 0xbf4178ce, v54
	v_add_f32_e32 v19, v32, v19
	v_add_f32_e32 v22, v45, v22
	v_fmac_f32_e32 v60, 0xbf4178ce, v2
	v_fmac_f32_e32 v39, 0xbf68dda4, v2
	v_fmamk_f32 v32, v55, 0xbf27a4f4, v29
	v_add_f32_e32 v19, v34, v19
	v_add_f32_e32 v22, v42, v22
	v_fma_f32 v2, 0x3ed4b147, v48, -v28
	v_add_f32_e32 v30, v1, v61
	v_add_f32_e32 v24, v32, v24
	v_fmamk_f32 v32, v58, 0xbf75a155, v44
	v_add_f32_e32 v34, v37, v19
	v_add_f32_e32 v37, v41, v22
	;; [unrolled: 1-line block ×5, first 2 shown]
	v_fmac_f32_e32 v62, 0x3e903f40, v43
	v_add_f32_e32 v24, v25, v37
	v_fma_f32 v25, 0x3ed4b147, v21, -v53
	v_mul_f32_e32 v38, 0xbf75a155, v51
	v_add_f32_e32 v1, v39, v1
	v_fmac_f32_e32 v31, 0xbf7d64f0, v43
	v_add_f32_e32 v30, v62, v30
	v_add_f32_e32 v21, v0, v25
	;; [unrolled: 1-line block ×3, first 2 shown]
	v_fma_f32 v25, 0xbf27a4f4, v48, -v59
	v_fmac_f32_e32 v27, 0x3f7d64f0, v33
	v_fmamk_f32 v50, v23, 0x3e903f40, v38
	v_add_f32_e32 v1, v31, v1
	v_add_f32_e32 v0, v2, v0
	v_fma_f32 v2, 0xbe11bafb, v52, -v40
	v_add_f32_e32 v3, v25, v21
	v_fma_f32 v21, 0xbf75a155, v52, -v65
	v_fmac_f32_e32 v35, 0xbf4178ce, v33
	v_fmac_f32_e32 v63, 0x3f0a6770, v23
	v_add_f32_e32 v0, v2, v0
	v_fma_f32 v2, 0xbf27a4f4, v55, -v29
	v_add_f32_e32 v3, v21, v3
	v_fma_f32 v21, 0xbe11bafb, v55, -v66
	v_fmac_f32_e32 v38, 0xbe903f40, v23
	v_fma_f32 v23, 0xbf75a155, v58, -v44
	v_add_f32_e32 v2, v2, v0
	v_add_f32_e32 v22, v26, v34
	;; [unrolled: 1-line block ×4, first 2 shown]
	v_fma_f32 v25, 0x3f575c64, v58, -v69
	v_add_f32_e32 v20, v50, v49
	v_add_f32_e32 v27, v35, v1
	;; [unrolled: 1-line block ×3, first 2 shown]
	v_add_nc_u32_e32 v16, 0x800, v86
	v_add_f32_e32 v2, v23, v2
	v_add_nc_u32_e32 v23, 0x1000, v86
	v_add_nc_u32_e32 v24, 0x1800, v86
	v_add_f32_e32 v1, v63, v26
	v_add_f32_e32 v0, v25, v3
	v_add_nc_u32_e32 v25, 0x2000, v86
	v_add_f32_e32 v3, v38, v27
	ds_write2_b64 v86, v[21:22], v[19:20] offset1:136
	ds_write2_b64 v16, v[17:18], v[14:15] offset0:16 offset1:152
	ds_write2_b64 v23, v[12:13], v[10:11] offset0:32 offset1:168
	;; [unrolled: 1-line block ×4, first 2 shown]
	ds_write_b64 v86, v[2:3] offset:10880
.LBB0_21:
	s_or_b32 exec_lo, exec_lo, s1
	s_waitcnt lgkmcnt(0)
	s_barrier
	buffer_gl0_inv
	s_and_b32 exec_lo, exec_lo, vcc_lo
	s_cbranch_execz .LBB0_23
; %bb.22:
	global_load_dwordx2 v[0:1], v86, s[8:9]
	ds_read_b64 v[2:3], v86
	s_mov_b32 s0, 0xb8d015e7
	s_mov_b32 s1, 0x3f45e75b
	v_mad_u64_u32 v[6:7], null, s4, v87, 0
	s_mul_i32 s2, s5, 0x2c0
	s_mul_i32 s3, s4, 0x2c0
	s_waitcnt vmcnt(0) lgkmcnt(0)
	v_mul_f32_e32 v4, v3, v1
	v_mul_f32_e32 v1, v2, v1
	v_fmac_f32_e32 v4, v2, v0
	v_fma_f32 v2, v0, v3, -v1
	v_cvt_f64_f32_e32 v[0:1], v4
	v_cvt_f64_f32_e32 v[2:3], v2
	v_mad_u64_u32 v[4:5], null, s6, v68, 0
	s_mul_hi_u32 s6, s4, 0x2c0
	s_add_i32 s2, s6, s2
	v_add_co_u32 v12, s6, s8, v86
	v_add_co_ci_u32_e64 v13, null, s9, 0, s6
	v_mad_u64_u32 v[8:9], null, s7, v68, v[5:6]
	v_mad_u64_u32 v[9:10], null, s5, v87, v[7:8]
	v_mov_b32_e32 v5, v8
	v_mul_f64 v[0:1], v[0:1], s[0:1]
	v_mul_f64 v[2:3], v[2:3], s[0:1]
	v_mov_b32_e32 v7, v9
	v_cvt_f32_f64_e32 v0, v[0:1]
	v_cvt_f32_f64_e32 v1, v[2:3]
	v_lshlrev_b64 v[2:3], 3, v[4:5]
	v_lshlrev_b64 v[4:5], 3, v[6:7]
	v_add_co_u32 v10, vcc_lo, s10, v2
	v_add_co_ci_u32_e32 v11, vcc_lo, s11, v3, vcc_lo
	v_add_co_u32 v4, vcc_lo, v10, v4
	v_add_co_ci_u32_e32 v5, vcc_lo, v11, v5, vcc_lo
	global_store_dwordx2 v[4:5], v[0:1], off
	global_load_dwordx2 v[6:7], v86, s[8:9] offset:704
	ds_read2_b64 v[0:3], v86 offset0:88 offset1:176
	v_add_co_u32 v4, vcc_lo, v4, s3
	v_add_co_ci_u32_e32 v5, vcc_lo, s2, v5, vcc_lo
	s_waitcnt vmcnt(0) lgkmcnt(0)
	v_mul_f32_e32 v8, v1, v7
	v_mul_f32_e32 v7, v0, v7
	v_fmac_f32_e32 v8, v0, v6
	v_fma_f32 v6, v6, v1, -v7
	v_cvt_f64_f32_e32 v[0:1], v8
	v_cvt_f64_f32_e32 v[6:7], v6
	v_mul_f64 v[0:1], v[0:1], s[0:1]
	v_mul_f64 v[6:7], v[6:7], s[0:1]
	v_cvt_f32_f64_e32 v0, v[0:1]
	v_cvt_f32_f64_e32 v1, v[6:7]
	global_store_dwordx2 v[4:5], v[0:1], off
	global_load_dwordx2 v[0:1], v86, s[8:9] offset:1408
	v_add_co_u32 v4, vcc_lo, v4, s3
	v_add_co_ci_u32_e32 v5, vcc_lo, s2, v5, vcc_lo
	s_waitcnt vmcnt(0)
	v_mul_f32_e32 v6, v3, v1
	v_mul_f32_e32 v1, v2, v1
	v_fmac_f32_e32 v6, v2, v0
	v_fma_f32 v2, v0, v3, -v1
	v_cvt_f64_f32_e32 v[0:1], v6
	v_cvt_f64_f32_e32 v[2:3], v2
	v_add_co_u32 v6, vcc_lo, 0x800, v12
	v_add_co_ci_u32_e32 v7, vcc_lo, 0, v13, vcc_lo
	v_mul_f64 v[0:1], v[0:1], s[0:1]
	v_mul_f64 v[2:3], v[2:3], s[0:1]
	v_cvt_f32_f64_e32 v0, v[0:1]
	v_cvt_f32_f64_e32 v1, v[2:3]
	global_store_dwordx2 v[4:5], v[0:1], off
	global_load_dwordx2 v[8:9], v[6:7], off offset:64
	v_add_nc_u32_e32 v0, 0x800, v86
	v_add_co_u32 v4, vcc_lo, v4, s3
	v_add_co_ci_u32_e32 v5, vcc_lo, s2, v5, vcc_lo
	ds_read2_b64 v[0:3], v0 offset0:8 offset1:96
	s_waitcnt vmcnt(0) lgkmcnt(0)
	v_mul_f32_e32 v14, v1, v9
	v_mul_f32_e32 v9, v0, v9
	v_fmac_f32_e32 v14, v0, v8
	v_fma_f32 v8, v8, v1, -v9
	v_cvt_f64_f32_e32 v[0:1], v14
	v_cvt_f64_f32_e32 v[8:9], v8
	v_mul_f64 v[0:1], v[0:1], s[0:1]
	v_mul_f64 v[8:9], v[8:9], s[0:1]
	v_cvt_f32_f64_e32 v0, v[0:1]
	v_cvt_f32_f64_e32 v1, v[8:9]
	global_store_dwordx2 v[4:5], v[0:1], off
	global_load_dwordx2 v[0:1], v[6:7], off offset:768
	v_add_co_u32 v4, vcc_lo, v4, s3
	v_add_co_ci_u32_e32 v5, vcc_lo, s2, v5, vcc_lo
	s_waitcnt vmcnt(0)
	v_mul_f32_e32 v8, v3, v1
	v_mul_f32_e32 v1, v2, v1
	v_fmac_f32_e32 v8, v2, v0
	v_fma_f32 v2, v0, v3, -v1
	v_cvt_f64_f32_e32 v[0:1], v8
	v_cvt_f64_f32_e32 v[2:3], v2
	v_mul_f64 v[0:1], v[0:1], s[0:1]
	v_mul_f64 v[2:3], v[2:3], s[0:1]
	v_cvt_f32_f64_e32 v0, v[0:1]
	v_cvt_f32_f64_e32 v1, v[2:3]
	global_store_dwordx2 v[4:5], v[0:1], off
	global_load_dwordx2 v[6:7], v[6:7], off offset:1472
	v_add_nc_u32_e32 v0, 0xc00, v86
	v_add_co_u32 v4, vcc_lo, v4, s3
	v_add_co_ci_u32_e32 v5, vcc_lo, s2, v5, vcc_lo
	ds_read2_b64 v[0:3], v0 offset0:56 offset1:144
	s_waitcnt vmcnt(0) lgkmcnt(0)
	v_mul_f32_e32 v8, v1, v7
	v_mul_f32_e32 v7, v0, v7
	v_fmac_f32_e32 v8, v0, v6
	v_fma_f32 v6, v6, v1, -v7
	v_cvt_f64_f32_e32 v[0:1], v8
	v_cvt_f64_f32_e32 v[6:7], v6
	v_mul_f64 v[0:1], v[0:1], s[0:1]
	v_mul_f64 v[6:7], v[6:7], s[0:1]
	v_cvt_f32_f64_e32 v0, v[0:1]
	v_cvt_f32_f64_e32 v1, v[6:7]
	v_add_co_u32 v6, vcc_lo, 0x1000, v12
	v_add_co_ci_u32_e32 v7, vcc_lo, 0, v13, vcc_lo
	global_store_dwordx2 v[4:5], v[0:1], off
	global_load_dwordx2 v[0:1], v[6:7], off offset:128
	v_add_co_u32 v4, vcc_lo, v4, s3
	v_add_co_ci_u32_e32 v5, vcc_lo, s2, v5, vcc_lo
	s_waitcnt vmcnt(0)
	v_mul_f32_e32 v8, v3, v1
	v_mul_f32_e32 v1, v2, v1
	v_fmac_f32_e32 v8, v2, v0
	v_fma_f32 v2, v0, v3, -v1
	v_cvt_f64_f32_e32 v[0:1], v8
	v_cvt_f64_f32_e32 v[2:3], v2
	v_mul_f64 v[0:1], v[0:1], s[0:1]
	v_mul_f64 v[2:3], v[2:3], s[0:1]
	v_cvt_f32_f64_e32 v0, v[0:1]
	v_cvt_f32_f64_e32 v1, v[2:3]
	global_store_dwordx2 v[4:5], v[0:1], off
	global_load_dwordx2 v[8:9], v[6:7], off offset:832
	v_add_nc_u32_e32 v0, 0x1000, v86
	v_add_co_u32 v4, vcc_lo, v4, s3
	v_add_co_ci_u32_e32 v5, vcc_lo, s2, v5, vcc_lo
	ds_read2_b64 v[0:3], v0 offset0:104 offset1:192
	s_waitcnt vmcnt(0) lgkmcnt(0)
	v_mul_f32_e32 v14, v1, v9
	v_mul_f32_e32 v9, v0, v9
	v_fmac_f32_e32 v14, v0, v8
	v_fma_f32 v8, v8, v1, -v9
	v_cvt_f64_f32_e32 v[0:1], v14
	v_cvt_f64_f32_e32 v[8:9], v8
	v_mul_f64 v[0:1], v[0:1], s[0:1]
	v_mul_f64 v[8:9], v[8:9], s[0:1]
	v_cvt_f32_f64_e32 v0, v[0:1]
	v_cvt_f32_f64_e32 v1, v[8:9]
	global_store_dwordx2 v[4:5], v[0:1], off
	global_load_dwordx2 v[0:1], v[6:7], off offset:1536
	v_add_co_u32 v4, vcc_lo, v4, s3
	v_add_co_ci_u32_e32 v5, vcc_lo, s2, v5, vcc_lo
	s_waitcnt vmcnt(0)
	v_mul_f32_e32 v6, v3, v1
	v_mul_f32_e32 v1, v2, v1
	v_fmac_f32_e32 v6, v2, v0
	v_fma_f32 v2, v0, v3, -v1
	v_cvt_f64_f32_e32 v[0:1], v6
	v_cvt_f64_f32_e32 v[2:3], v2
	v_add_co_u32 v6, vcc_lo, 0x1800, v12
	v_add_co_ci_u32_e32 v7, vcc_lo, 0, v13, vcc_lo
	v_mul_f64 v[0:1], v[0:1], s[0:1]
	v_mul_f64 v[2:3], v[2:3], s[0:1]
	v_cvt_f32_f64_e32 v0, v[0:1]
	v_cvt_f32_f64_e32 v1, v[2:3]
	global_store_dwordx2 v[4:5], v[0:1], off
	global_load_dwordx2 v[8:9], v[6:7], off offset:192
	v_add_nc_u32_e32 v0, 0x1800, v86
	v_add_co_u32 v4, vcc_lo, v4, s3
	v_add_co_ci_u32_e32 v5, vcc_lo, s2, v5, vcc_lo
	ds_read2_b64 v[0:3], v0 offset0:24 offset1:112
	s_waitcnt vmcnt(0) lgkmcnt(0)
	v_mul_f32_e32 v14, v1, v9
	v_mul_f32_e32 v9, v0, v9
	v_fmac_f32_e32 v14, v0, v8
	v_fma_f32 v8, v8, v1, -v9
	v_cvt_f64_f32_e32 v[0:1], v14
	v_cvt_f64_f32_e32 v[8:9], v8
	v_mul_f64 v[0:1], v[0:1], s[0:1]
	v_mul_f64 v[8:9], v[8:9], s[0:1]
	v_cvt_f32_f64_e32 v0, v[0:1]
	v_cvt_f32_f64_e32 v1, v[8:9]
	global_store_dwordx2 v[4:5], v[0:1], off
	global_load_dwordx2 v[0:1], v[6:7], off offset:896
	v_add_co_u32 v4, vcc_lo, v4, s3
	v_add_co_ci_u32_e32 v5, vcc_lo, s2, v5, vcc_lo
	s_waitcnt vmcnt(0)
	v_mul_f32_e32 v8, v3, v1
	v_mul_f32_e32 v1, v2, v1
	v_fmac_f32_e32 v8, v2, v0
	v_fma_f32 v2, v0, v3, -v1
	v_cvt_f64_f32_e32 v[0:1], v8
	v_cvt_f64_f32_e32 v[2:3], v2
	v_mul_f64 v[0:1], v[0:1], s[0:1]
	v_mul_f64 v[2:3], v[2:3], s[0:1]
	v_cvt_f32_f64_e32 v0, v[0:1]
	v_cvt_f32_f64_e32 v1, v[2:3]
	global_store_dwordx2 v[4:5], v[0:1], off
	global_load_dwordx2 v[6:7], v[6:7], off offset:1600
	v_add_nc_u32_e32 v0, 0x1c00, v86
	v_add_co_u32 v4, vcc_lo, v4, s3
	v_add_co_ci_u32_e32 v5, vcc_lo, s2, v5, vcc_lo
	ds_read2_b64 v[0:3], v0 offset0:72 offset1:160
	s_waitcnt vmcnt(0) lgkmcnt(0)
	v_mul_f32_e32 v8, v1, v7
	v_mul_f32_e32 v7, v0, v7
	v_fmac_f32_e32 v8, v0, v6
	v_fma_f32 v6, v6, v1, -v7
	v_cvt_f64_f32_e32 v[0:1], v8
	v_cvt_f64_f32_e32 v[6:7], v6
	v_mul_f64 v[0:1], v[0:1], s[0:1]
	v_mul_f64 v[6:7], v[6:7], s[0:1]
	v_cvt_f32_f64_e32 v0, v[0:1]
	v_cvt_f32_f64_e32 v1, v[6:7]
	v_add_co_u32 v6, vcc_lo, 0x2000, v12
	v_add_co_ci_u32_e32 v7, vcc_lo, 0, v13, vcc_lo
	global_store_dwordx2 v[4:5], v[0:1], off
	global_load_dwordx2 v[0:1], v[6:7], off offset:256
	v_add_co_u32 v4, vcc_lo, v4, s3
	v_add_co_ci_u32_e32 v5, vcc_lo, s2, v5, vcc_lo
	s_waitcnt vmcnt(0)
	v_mul_f32_e32 v8, v3, v1
	v_mul_f32_e32 v1, v2, v1
	v_fmac_f32_e32 v8, v2, v0
	v_fma_f32 v2, v0, v3, -v1
	v_cvt_f64_f32_e32 v[0:1], v8
	v_cvt_f64_f32_e32 v[2:3], v2
	v_mul_f64 v[0:1], v[0:1], s[0:1]
	v_mul_f64 v[2:3], v[2:3], s[0:1]
	v_cvt_f32_f64_e32 v0, v[0:1]
	v_cvt_f32_f64_e32 v1, v[2:3]
	global_store_dwordx2 v[4:5], v[0:1], off
	global_load_dwordx2 v[8:9], v[6:7], off offset:960
	v_add_nc_u32_e32 v0, 0x2000, v86
	v_add_co_u32 v4, vcc_lo, v4, s3
	v_add_co_ci_u32_e32 v5, vcc_lo, s2, v5, vcc_lo
	ds_read2_b64 v[0:3], v0 offset0:120 offset1:208
	s_waitcnt vmcnt(0) lgkmcnt(0)
	v_mul_f32_e32 v14, v1, v9
	v_mul_f32_e32 v9, v0, v9
	v_fmac_f32_e32 v14, v0, v8
	v_fma_f32 v8, v8, v1, -v9
	v_cvt_f64_f32_e32 v[0:1], v14
	v_cvt_f64_f32_e32 v[8:9], v8
	v_mul_f64 v[0:1], v[0:1], s[0:1]
	v_mul_f64 v[8:9], v[8:9], s[0:1]
	v_cvt_f32_f64_e32 v0, v[0:1]
	v_cvt_f32_f64_e32 v1, v[8:9]
	global_store_dwordx2 v[4:5], v[0:1], off
	global_load_dwordx2 v[0:1], v[6:7], off offset:1664
	v_add_co_u32 v4, vcc_lo, v4, s3
	v_add_co_ci_u32_e32 v5, vcc_lo, s2, v5, vcc_lo
	s_waitcnt vmcnt(0)
	v_mul_f32_e32 v6, v3, v1
	v_mul_f32_e32 v1, v2, v1
	v_fmac_f32_e32 v6, v2, v0
	v_fma_f32 v2, v0, v3, -v1
	v_cvt_f64_f32_e32 v[0:1], v6
	v_cvt_f64_f32_e32 v[2:3], v2
	v_mul_f64 v[0:1], v[0:1], s[0:1]
	v_mul_f64 v[2:3], v[2:3], s[0:1]
	v_cvt_f32_f64_e32 v0, v[0:1]
	v_cvt_f32_f64_e32 v1, v[2:3]
	v_add_co_u32 v2, vcc_lo, 0x2800, v12
	v_add_co_ci_u32_e32 v3, vcc_lo, 0, v13, vcc_lo
	global_store_dwordx2 v[4:5], v[0:1], off
	global_load_dwordx2 v[6:7], v[2:3], off offset:320
	v_add_nc_u32_e32 v0, 0x2800, v86
	v_add_co_u32 v4, vcc_lo, v4, s3
	v_add_co_ci_u32_e32 v5, vcc_lo, s2, v5, vcc_lo
	ds_read2_b64 v[0:3], v0 offset0:40 offset1:128
	s_waitcnt vmcnt(0) lgkmcnt(0)
	v_mul_f32_e32 v8, v1, v7
	v_mul_f32_e32 v7, v0, v7
	v_fmac_f32_e32 v8, v0, v6
	v_fma_f32 v6, v6, v1, -v7
	v_cvt_f64_f32_e32 v[0:1], v8
	v_cvt_f64_f32_e32 v[6:7], v6
	v_mul_f64 v[0:1], v[0:1], s[0:1]
	v_mul_f64 v[6:7], v[6:7], s[0:1]
	v_cvt_f32_f64_e32 v0, v[0:1]
	v_cvt_f32_f64_e32 v1, v[6:7]
	v_lshlrev_b32_e32 v6, 3, v85
	global_store_dwordx2 v[4:5], v[0:1], off
	global_load_dwordx2 v[0:1], v6, s[8:9]
	s_waitcnt vmcnt(0)
	v_mul_f32_e32 v4, v3, v1
	v_mul_f32_e32 v1, v2, v1
	v_fmac_f32_e32 v4, v2, v0
	v_fma_f32 v2, v0, v3, -v1
	v_cvt_f64_f32_e32 v[0:1], v4
	v_cvt_f64_f32_e32 v[2:3], v2
	v_mad_u64_u32 v[4:5], null, s4, v85, 0
	v_mad_u64_u32 v[5:6], null, s5, v85, v[5:6]
	v_mul_f64 v[0:1], v[0:1], s[0:1]
	v_mul_f64 v[2:3], v[2:3], s[0:1]
	v_cvt_f32_f64_e32 v0, v[0:1]
	v_cvt_f32_f64_e32 v1, v[2:3]
	v_lshlrev_b64 v[2:3], 3, v[4:5]
	v_add_co_u32 v2, vcc_lo, v10, v2
	v_add_co_ci_u32_e32 v3, vcc_lo, v11, v3, vcc_lo
	global_store_dwordx2 v[2:3], v[0:1], off
.LBB0_23:
	s_endpgm
	.section	.rodata,"a",@progbits
	.p2align	6, 0x0
	.amdhsa_kernel bluestein_single_back_len1496_dim1_sp_op_CI_CI
		.amdhsa_group_segment_fixed_size 11968
		.amdhsa_private_segment_fixed_size 0
		.amdhsa_kernarg_size 104
		.amdhsa_user_sgpr_count 6
		.amdhsa_user_sgpr_private_segment_buffer 1
		.amdhsa_user_sgpr_dispatch_ptr 0
		.amdhsa_user_sgpr_queue_ptr 0
		.amdhsa_user_sgpr_kernarg_segment_ptr 1
		.amdhsa_user_sgpr_dispatch_id 0
		.amdhsa_user_sgpr_flat_scratch_init 0
		.amdhsa_user_sgpr_private_segment_size 0
		.amdhsa_wavefront_size32 1
		.amdhsa_uses_dynamic_stack 0
		.amdhsa_system_sgpr_private_segment_wavefront_offset 0
		.amdhsa_system_sgpr_workgroup_id_x 1
		.amdhsa_system_sgpr_workgroup_id_y 0
		.amdhsa_system_sgpr_workgroup_id_z 0
		.amdhsa_system_sgpr_workgroup_info 0
		.amdhsa_system_vgpr_workitem_id 0
		.amdhsa_next_free_vgpr 255
		.amdhsa_next_free_sgpr 16
		.amdhsa_reserve_vcc 1
		.amdhsa_reserve_flat_scratch 0
		.amdhsa_float_round_mode_32 0
		.amdhsa_float_round_mode_16_64 0
		.amdhsa_float_denorm_mode_32 3
		.amdhsa_float_denorm_mode_16_64 3
		.amdhsa_dx10_clamp 1
		.amdhsa_ieee_mode 1
		.amdhsa_fp16_overflow 0
		.amdhsa_workgroup_processor_mode 1
		.amdhsa_memory_ordered 1
		.amdhsa_forward_progress 0
		.amdhsa_shared_vgpr_count 0
		.amdhsa_exception_fp_ieee_invalid_op 0
		.amdhsa_exception_fp_denorm_src 0
		.amdhsa_exception_fp_ieee_div_zero 0
		.amdhsa_exception_fp_ieee_overflow 0
		.amdhsa_exception_fp_ieee_underflow 0
		.amdhsa_exception_fp_ieee_inexact 0
		.amdhsa_exception_int_div_zero 0
	.end_amdhsa_kernel
	.text
.Lfunc_end0:
	.size	bluestein_single_back_len1496_dim1_sp_op_CI_CI, .Lfunc_end0-bluestein_single_back_len1496_dim1_sp_op_CI_CI
                                        ; -- End function
	.section	.AMDGPU.csdata,"",@progbits
; Kernel info:
; codeLenInByte = 20700
; NumSgprs: 18
; NumVgprs: 255
; ScratchSize: 0
; MemoryBound: 0
; FloatMode: 240
; IeeeMode: 1
; LDSByteSize: 11968 bytes/workgroup (compile time only)
; SGPRBlocks: 2
; VGPRBlocks: 31
; NumSGPRsForWavesPerEU: 18
; NumVGPRsForWavesPerEU: 255
; Occupancy: 4
; WaveLimiterHint : 1
; COMPUTE_PGM_RSRC2:SCRATCH_EN: 0
; COMPUTE_PGM_RSRC2:USER_SGPR: 6
; COMPUTE_PGM_RSRC2:TRAP_HANDLER: 0
; COMPUTE_PGM_RSRC2:TGID_X_EN: 1
; COMPUTE_PGM_RSRC2:TGID_Y_EN: 0
; COMPUTE_PGM_RSRC2:TGID_Z_EN: 0
; COMPUTE_PGM_RSRC2:TIDIG_COMP_CNT: 0
	.text
	.p2alignl 6, 3214868480
	.fill 48, 4, 3214868480
	.type	__hip_cuid_ec173bc0cadf98c5,@object ; @__hip_cuid_ec173bc0cadf98c5
	.section	.bss,"aw",@nobits
	.globl	__hip_cuid_ec173bc0cadf98c5
__hip_cuid_ec173bc0cadf98c5:
	.byte	0                               ; 0x0
	.size	__hip_cuid_ec173bc0cadf98c5, 1

	.ident	"AMD clang version 19.0.0git (https://github.com/RadeonOpenCompute/llvm-project roc-6.4.0 25133 c7fe45cf4b819c5991fe208aaa96edf142730f1d)"
	.section	".note.GNU-stack","",@progbits
	.addrsig
	.addrsig_sym __hip_cuid_ec173bc0cadf98c5
	.amdgpu_metadata
---
amdhsa.kernels:
  - .args:
      - .actual_access:  read_only
        .address_space:  global
        .offset:         0
        .size:           8
        .value_kind:     global_buffer
      - .actual_access:  read_only
        .address_space:  global
        .offset:         8
        .size:           8
        .value_kind:     global_buffer
      - .actual_access:  read_only
        .address_space:  global
        .offset:         16
        .size:           8
        .value_kind:     global_buffer
      - .actual_access:  read_only
        .address_space:  global
        .offset:         24
        .size:           8
        .value_kind:     global_buffer
      - .actual_access:  read_only
        .address_space:  global
        .offset:         32
        .size:           8
        .value_kind:     global_buffer
      - .offset:         40
        .size:           8
        .value_kind:     by_value
      - .address_space:  global
        .offset:         48
        .size:           8
        .value_kind:     global_buffer
      - .address_space:  global
        .offset:         56
        .size:           8
        .value_kind:     global_buffer
      - .address_space:  global
        .offset:         64
        .size:           8
        .value_kind:     global_buffer
      - .address_space:  global
        .offset:         72
        .size:           8
        .value_kind:     global_buffer
      - .offset:         80
        .size:           4
        .value_kind:     by_value
      - .address_space:  global
        .offset:         88
        .size:           8
        .value_kind:     global_buffer
      - .address_space:  global
        .offset:         96
        .size:           8
        .value_kind:     global_buffer
    .group_segment_fixed_size: 11968
    .kernarg_segment_align: 8
    .kernarg_segment_size: 104
    .language:       OpenCL C
    .language_version:
      - 2
      - 0
    .max_flat_workgroup_size: 187
    .name:           bluestein_single_back_len1496_dim1_sp_op_CI_CI
    .private_segment_fixed_size: 0
    .sgpr_count:     18
    .sgpr_spill_count: 0
    .symbol:         bluestein_single_back_len1496_dim1_sp_op_CI_CI.kd
    .uniform_work_group_size: 1
    .uses_dynamic_stack: false
    .vgpr_count:     255
    .vgpr_spill_count: 0
    .wavefront_size: 32
    .workgroup_processor_mode: 1
amdhsa.target:   amdgcn-amd-amdhsa--gfx1030
amdhsa.version:
  - 1
  - 2
...

	.end_amdgpu_metadata
